;; amdgpu-corpus repo=ROCm/rocFFT kind=compiled arch=gfx1030 opt=O3
	.text
	.amdgcn_target "amdgcn-amd-amdhsa--gfx1030"
	.amdhsa_code_object_version 6
	.protected	fft_rtc_back_len3840_factors_10_6_2_2_2_2_2_2_wgs_128_tpt_128_halfLds_sp_op_CI_CI_unitstride_sbrr_C2R_dirReg ; -- Begin function fft_rtc_back_len3840_factors_10_6_2_2_2_2_2_2_wgs_128_tpt_128_halfLds_sp_op_CI_CI_unitstride_sbrr_C2R_dirReg
	.globl	fft_rtc_back_len3840_factors_10_6_2_2_2_2_2_2_wgs_128_tpt_128_halfLds_sp_op_CI_CI_unitstride_sbrr_C2R_dirReg
	.p2align	8
	.type	fft_rtc_back_len3840_factors_10_6_2_2_2_2_2_2_wgs_128_tpt_128_halfLds_sp_op_CI_CI_unitstride_sbrr_C2R_dirReg,@function
fft_rtc_back_len3840_factors_10_6_2_2_2_2_2_2_wgs_128_tpt_128_halfLds_sp_op_CI_CI_unitstride_sbrr_C2R_dirReg: ; @fft_rtc_back_len3840_factors_10_6_2_2_2_2_2_2_wgs_128_tpt_128_halfLds_sp_op_CI_CI_unitstride_sbrr_C2R_dirReg
; %bb.0:
	s_clause 0x2
	s_load_dwordx4 s[12:15], s[4:5], 0x0
	s_load_dwordx4 s[8:11], s[4:5], 0x58
	;; [unrolled: 1-line block ×3, first 2 shown]
	v_mov_b32_e32 v3, 0
	v_mov_b32_e32 v1, 0
	v_mov_b32_e32 v5, s6
	v_mov_b32_e32 v2, 0
	v_mov_b32_e32 v6, v3
	s_waitcnt lgkmcnt(0)
	v_cmp_lt_u64_e64 s0, s[14:15], 2
	s_and_b32 vcc_lo, exec_lo, s0
	s_cbranch_vccnz .LBB0_8
; %bb.1:
	s_load_dwordx2 s[0:1], s[4:5], 0x10
	v_mov_b32_e32 v1, 0
	v_mov_b32_e32 v2, 0
	s_add_u32 s2, s18, 8
	s_addc_u32 s3, s19, 0
	s_add_u32 s6, s16, 8
	s_addc_u32 s7, s17, 0
	v_mov_b32_e32 v42, v2
	v_mov_b32_e32 v41, v1
	s_mov_b64 s[22:23], 1
	s_waitcnt lgkmcnt(0)
	s_add_u32 s20, s0, 8
	s_addc_u32 s21, s1, 0
.LBB0_2:                                ; =>This Inner Loop Header: Depth=1
	s_load_dwordx2 s[24:25], s[20:21], 0x0
                                        ; implicit-def: $vgpr43_vgpr44
	s_mov_b32 s0, exec_lo
	s_waitcnt lgkmcnt(0)
	v_or_b32_e32 v4, s25, v6
	v_cmpx_ne_u64_e32 0, v[3:4]
	s_xor_b32 s1, exec_lo, s0
	s_cbranch_execz .LBB0_4
; %bb.3:                                ;   in Loop: Header=BB0_2 Depth=1
	v_cvt_f32_u32_e32 v4, s24
	v_cvt_f32_u32_e32 v7, s25
	s_sub_u32 s0, 0, s24
	s_subb_u32 s26, 0, s25
	v_fmac_f32_e32 v4, 0x4f800000, v7
	v_rcp_f32_e32 v4, v4
	v_mul_f32_e32 v4, 0x5f7ffffc, v4
	v_mul_f32_e32 v7, 0x2f800000, v4
	v_trunc_f32_e32 v7, v7
	v_fmac_f32_e32 v4, 0xcf800000, v7
	v_cvt_u32_f32_e32 v7, v7
	v_cvt_u32_f32_e32 v4, v4
	v_mul_lo_u32 v8, s0, v7
	v_mul_hi_u32 v9, s0, v4
	v_mul_lo_u32 v10, s26, v4
	v_add_nc_u32_e32 v8, v9, v8
	v_mul_lo_u32 v9, s0, v4
	v_add_nc_u32_e32 v8, v8, v10
	v_mul_hi_u32 v10, v4, v9
	v_mul_lo_u32 v11, v4, v8
	v_mul_hi_u32 v12, v4, v8
	v_mul_hi_u32 v13, v7, v9
	v_mul_lo_u32 v9, v7, v9
	v_mul_hi_u32 v14, v7, v8
	v_mul_lo_u32 v8, v7, v8
	v_add_co_u32 v10, vcc_lo, v10, v11
	v_add_co_ci_u32_e32 v11, vcc_lo, 0, v12, vcc_lo
	v_add_co_u32 v9, vcc_lo, v10, v9
	v_add_co_ci_u32_e32 v9, vcc_lo, v11, v13, vcc_lo
	v_add_co_ci_u32_e32 v10, vcc_lo, 0, v14, vcc_lo
	v_add_co_u32 v8, vcc_lo, v9, v8
	v_add_co_ci_u32_e32 v9, vcc_lo, 0, v10, vcc_lo
	v_add_co_u32 v4, vcc_lo, v4, v8
	v_add_co_ci_u32_e32 v7, vcc_lo, v7, v9, vcc_lo
	v_mul_hi_u32 v8, s0, v4
	v_mul_lo_u32 v10, s26, v4
	v_mul_lo_u32 v9, s0, v7
	v_add_nc_u32_e32 v8, v8, v9
	v_mul_lo_u32 v9, s0, v4
	v_add_nc_u32_e32 v8, v8, v10
	v_mul_hi_u32 v10, v4, v9
	v_mul_lo_u32 v11, v4, v8
	v_mul_hi_u32 v12, v4, v8
	v_mul_hi_u32 v13, v7, v9
	v_mul_lo_u32 v9, v7, v9
	v_mul_hi_u32 v14, v7, v8
	v_mul_lo_u32 v8, v7, v8
	v_add_co_u32 v10, vcc_lo, v10, v11
	v_add_co_ci_u32_e32 v11, vcc_lo, 0, v12, vcc_lo
	v_add_co_u32 v9, vcc_lo, v10, v9
	v_add_co_ci_u32_e32 v9, vcc_lo, v11, v13, vcc_lo
	v_add_co_ci_u32_e32 v10, vcc_lo, 0, v14, vcc_lo
	v_add_co_u32 v8, vcc_lo, v9, v8
	v_add_co_ci_u32_e32 v9, vcc_lo, 0, v10, vcc_lo
	v_add_co_u32 v4, vcc_lo, v4, v8
	v_add_co_ci_u32_e32 v11, vcc_lo, v7, v9, vcc_lo
	v_mul_hi_u32 v13, v5, v4
	v_mad_u64_u32 v[9:10], null, v6, v4, 0
	v_mad_u64_u32 v[7:8], null, v5, v11, 0
	;; [unrolled: 1-line block ×3, first 2 shown]
	v_add_co_u32 v4, vcc_lo, v13, v7
	v_add_co_ci_u32_e32 v7, vcc_lo, 0, v8, vcc_lo
	v_add_co_u32 v4, vcc_lo, v4, v9
	v_add_co_ci_u32_e32 v4, vcc_lo, v7, v10, vcc_lo
	v_add_co_ci_u32_e32 v7, vcc_lo, 0, v12, vcc_lo
	v_add_co_u32 v4, vcc_lo, v4, v11
	v_add_co_ci_u32_e32 v9, vcc_lo, 0, v7, vcc_lo
	v_mul_lo_u32 v10, s25, v4
	v_mad_u64_u32 v[7:8], null, s24, v4, 0
	v_mul_lo_u32 v11, s24, v9
	v_sub_co_u32 v7, vcc_lo, v5, v7
	v_add3_u32 v8, v8, v11, v10
	v_sub_nc_u32_e32 v10, v6, v8
	v_subrev_co_ci_u32_e64 v10, s0, s25, v10, vcc_lo
	v_add_co_u32 v11, s0, v4, 2
	v_add_co_ci_u32_e64 v12, s0, 0, v9, s0
	v_sub_co_u32 v13, s0, v7, s24
	v_sub_co_ci_u32_e32 v8, vcc_lo, v6, v8, vcc_lo
	v_subrev_co_ci_u32_e64 v10, s0, 0, v10, s0
	v_cmp_le_u32_e32 vcc_lo, s24, v13
	v_cmp_eq_u32_e64 s0, s25, v8
	v_cndmask_b32_e64 v13, 0, -1, vcc_lo
	v_cmp_le_u32_e32 vcc_lo, s25, v10
	v_cndmask_b32_e64 v14, 0, -1, vcc_lo
	v_cmp_le_u32_e32 vcc_lo, s24, v7
	;; [unrolled: 2-line block ×3, first 2 shown]
	v_cndmask_b32_e64 v15, 0, -1, vcc_lo
	v_cmp_eq_u32_e32 vcc_lo, s25, v10
	v_cndmask_b32_e64 v7, v15, v7, s0
	v_cndmask_b32_e32 v10, v14, v13, vcc_lo
	v_add_co_u32 v13, vcc_lo, v4, 1
	v_add_co_ci_u32_e32 v14, vcc_lo, 0, v9, vcc_lo
	v_cmp_ne_u32_e32 vcc_lo, 0, v10
	v_cndmask_b32_e32 v8, v14, v12, vcc_lo
	v_cndmask_b32_e32 v10, v13, v11, vcc_lo
	v_cmp_ne_u32_e32 vcc_lo, 0, v7
	v_cndmask_b32_e32 v44, v9, v8, vcc_lo
	v_cndmask_b32_e32 v43, v4, v10, vcc_lo
.LBB0_4:                                ;   in Loop: Header=BB0_2 Depth=1
	s_andn2_saveexec_b32 s0, s1
	s_cbranch_execz .LBB0_6
; %bb.5:                                ;   in Loop: Header=BB0_2 Depth=1
	v_cvt_f32_u32_e32 v4, s24
	s_sub_i32 s1, 0, s24
	v_mov_b32_e32 v44, v3
	v_rcp_iflag_f32_e32 v4, v4
	v_mul_f32_e32 v4, 0x4f7ffffe, v4
	v_cvt_u32_f32_e32 v4, v4
	v_mul_lo_u32 v7, s1, v4
	v_mul_hi_u32 v7, v4, v7
	v_add_nc_u32_e32 v4, v4, v7
	v_mul_hi_u32 v4, v5, v4
	v_mul_lo_u32 v7, v4, s24
	v_add_nc_u32_e32 v8, 1, v4
	v_sub_nc_u32_e32 v7, v5, v7
	v_subrev_nc_u32_e32 v9, s24, v7
	v_cmp_le_u32_e32 vcc_lo, s24, v7
	v_cndmask_b32_e32 v7, v7, v9, vcc_lo
	v_cndmask_b32_e32 v4, v4, v8, vcc_lo
	v_cmp_le_u32_e32 vcc_lo, s24, v7
	v_add_nc_u32_e32 v8, 1, v4
	v_cndmask_b32_e32 v43, v4, v8, vcc_lo
.LBB0_6:                                ;   in Loop: Header=BB0_2 Depth=1
	s_or_b32 exec_lo, exec_lo, s0
	v_mul_lo_u32 v4, v44, s24
	v_mul_lo_u32 v9, v43, s25
	s_load_dwordx2 s[0:1], s[6:7], 0x0
	v_mad_u64_u32 v[7:8], null, v43, s24, 0
	s_load_dwordx2 s[24:25], s[2:3], 0x0
	s_add_u32 s22, s22, 1
	s_addc_u32 s23, s23, 0
	s_add_u32 s2, s2, 8
	s_addc_u32 s3, s3, 0
	s_add_u32 s6, s6, 8
	v_add3_u32 v4, v8, v9, v4
	v_sub_co_u32 v5, vcc_lo, v5, v7
	s_addc_u32 s7, s7, 0
	s_add_u32 s20, s20, 8
	v_sub_co_ci_u32_e32 v4, vcc_lo, v6, v4, vcc_lo
	s_addc_u32 s21, s21, 0
	s_waitcnt lgkmcnt(0)
	v_mul_lo_u32 v6, s0, v4
	v_mul_lo_u32 v7, s1, v5
	v_mad_u64_u32 v[1:2], null, s0, v5, v[1:2]
	v_mul_lo_u32 v4, s24, v4
	v_mul_lo_u32 v8, s25, v5
	v_mad_u64_u32 v[41:42], null, s24, v5, v[41:42]
	v_cmp_ge_u64_e64 s0, s[22:23], s[14:15]
	v_add3_u32 v2, v7, v2, v6
	v_add3_u32 v42, v8, v42, v4
	s_and_b32 vcc_lo, exec_lo, s0
	s_cbranch_vccnz .LBB0_9
; %bb.7:                                ;   in Loop: Header=BB0_2 Depth=1
	v_mov_b32_e32 v5, v43
	v_mov_b32_e32 v6, v44
	s_branch .LBB0_2
.LBB0_8:
	v_mov_b32_e32 v42, v2
	v_mov_b32_e32 v44, v6
	;; [unrolled: 1-line block ×4, first 2 shown]
.LBB0_9:
	s_load_dwordx2 s[0:1], s[4:5], 0x28
	s_lshl_b64 s[4:5], s[14:15], 3
                                        ; implicit-def: $vgpr45
                                        ; implicit-def: $vgpr3_vgpr4
	s_add_u32 s2, s18, s4
	s_addc_u32 s3, s19, s5
	s_waitcnt lgkmcnt(0)
	v_cmp_gt_u64_e32 vcc_lo, s[0:1], v[43:44]
	v_cmp_le_u64_e64 s0, s[0:1], v[43:44]
	s_and_saveexec_b32 s1, s0
	s_xor_b32 s0, exec_lo, s1
; %bb.10:
	v_mov_b32_e32 v1, 0
	v_mov_b32_e32 v45, v0
	;; [unrolled: 1-line block ×4, first 2 shown]
                                        ; implicit-def: $vgpr1_vgpr2
; %bb.11:
	s_or_saveexec_b32 s1, s0
	s_load_dwordx2 s[2:3], s[2:3], 0x0
                                        ; implicit-def: $vgpr47
	s_xor_b32 exec_lo, exec_lo, s1
	s_cbranch_execz .LBB0_15
; %bb.12:
	s_add_u32 s4, s16, s4
	s_addc_u32 s5, s17, s5
	v_lshlrev_b64 v[5:6], 3, v[1:2]
	s_load_dwordx2 s[4:5], s[4:5], 0x0
	v_lshlrev_b32_e32 v40, 3, v0
	v_or_b32_e32 v9, 0x800, v40
	v_or_b32_e32 v10, 0xc00, v40
	;; [unrolled: 1-line block ×14, first 2 shown]
	s_waitcnt lgkmcnt(0)
	v_mul_lo_u32 v7, s5, v43
	v_mul_lo_u32 v8, s4, v44
	v_mad_u64_u32 v[3:4], null, s4, v43, 0
	v_or_b32_e32 v38, 0x4400, v40
	v_or_b32_e32 v45, 0x4800, v40
	;; [unrolled: 1-line block ×6, first 2 shown]
	v_add3_u32 v4, v4, v8, v7
	v_or_b32_e32 v75, 0x5c00, v40
	v_or_b32_e32 v57, 0x6000, v40
	;; [unrolled: 1-line block ×4, first 2 shown]
	v_lshlrev_b64 v[1:2], 3, v[3:4]
	v_or_b32_e32 v63, 0x6c00, v40
	v_or_b32_e32 v67, 0x7000, v40
	;; [unrolled: 1-line block ×3, first 2 shown]
	v_add_co_u32 v1, s0, s8, v1
	v_add_co_ci_u32_e64 v3, s0, s9, v2, s0
	v_add_co_u32 v2, s0, v1, v5
	v_add_co_ci_u32_e64 v5, s0, v3, v6, s0
	v_or_b32_e32 v1, 0x4000, v40
	v_add_co_u32 v3, s0, v2, v40
	v_add_co_ci_u32_e64 v4, s0, 0, v5, s0
	v_add_co_u32 v6, s0, v2, v9
	v_add_co_ci_u32_e64 v7, s0, 0, v5, s0
	;; [unrolled: 2-line block ×5, first 2 shown]
	s_clause 0x3
	global_load_dwordx2 v[14:15], v[3:4], off
	global_load_dwordx2 v[16:17], v[3:4], off offset:1024
	global_load_dwordx2 v[6:7], v[6:7], off
	global_load_dwordx2 v[8:9], v[8:9], off
	v_add_co_u32 v3, s0, v2, v18
	v_add_co_ci_u32_e64 v4, s0, 0, v5, s0
	v_add_co_u32 v18, s0, v2, v73
	v_add_co_ci_u32_e64 v19, s0, 0, v5, s0
	;; [unrolled: 2-line block ×22, first 2 shown]
	s_clause 0x3
	global_load_dwordx2 v[10:11], v[10:11], off
	global_load_dwordx2 v[12:13], v[12:13], off
	;; [unrolled: 1-line block ×4, first 2 shown]
	v_add_co_u32 v3, s0, v2, v67
	v_add_co_ci_u32_e64 v4, s0, 0, v5, s0
	v_add_co_u32 v67, s0, v2, v68
	v_add_co_ci_u32_e64 v68, s0, 0, v5, s0
	s_clause 0x15
	global_load_dwordx2 v[20:21], v[20:21], off
	global_load_dwordx2 v[22:23], v[22:23], off
	;; [unrolled: 1-line block ×22, first 2 shown]
	v_mov_b32_e32 v1, 0
	v_cmp_eq_u32_e64 s0, 0x7f, v0
	v_mov_b32_e32 v45, v0
	v_add_nc_u32_e32 v40, 0, v40
	v_add_nc_u32_e32 v64, 0, v73
	v_mov_b32_e32 v4, v1
	v_mov_b32_e32 v3, v0
	v_add_nc_u32_e32 v73, 0, v74
	v_add_nc_u32_e32 v74, 0, v75
	s_waitcnt vmcnt(28)
	ds_write2st64_b64 v40, v[14:15], v[16:17] offset1:2
	s_waitcnt vmcnt(26)
	ds_write2st64_b64 v40, v[6:7], v[8:9] offset0:4 offset1:6
	s_waitcnt vmcnt(24)
	ds_write2st64_b64 v40, v[10:11], v[12:13] offset0:8 offset1:10
	s_waitcnt vmcnt(22)
	ds_write_b64 v64, v[18:19]
	s_waitcnt vmcnt(21)
	ds_write2st64_b64 v40, v[65:66], v[20:21] offset0:12 offset1:16
	s_waitcnt vmcnt(19)
	ds_write2st64_b64 v40, v[22:23], v[24:25] offset0:18 offset1:20
	;; [unrolled: 2-line block ×4, first 2 shown]
	s_waitcnt vmcnt(14)
	ds_write_b64 v73, v[34:35]
	s_waitcnt vmcnt(12)
	ds_write2st64_b64 v40, v[36:37], v[38:39] offset0:32 offset1:34
	s_waitcnt vmcnt(10)
	ds_write2st64_b64 v40, v[69:70], v[46:47] offset0:36 offset1:38
	;; [unrolled: 2-line block ×3, first 2 shown]
	s_waitcnt vmcnt(6)
	ds_write_b64 v74, v[54:55]
	s_waitcnt vmcnt(5)
	ds_write2st64_b64 v40, v[52:53], v[56:57] offset0:44 offset1:48
	s_waitcnt vmcnt(3)
	ds_write2st64_b64 v40, v[58:59], v[60:61] offset0:50 offset1:52
	;; [unrolled: 2-line block ×3, first 2 shown]
	s_waitcnt vmcnt(0)
	ds_write_b64 v40, v[67:68] offset:29696
	s_and_saveexec_b32 s4, s0
	s_cbranch_execz .LBB0_14
; %bb.13:
	v_add_co_u32 v2, s0, 0x7800, v2
	v_add_co_ci_u32_e64 v3, s0, 0, v5, s0
	v_mov_b32_e32 v45, 0x7f
	global_load_dwordx2 v[5:6], v[2:3], off
	v_mov_b32_e32 v3, 0x7f
	v_mov_b32_e32 v4, 0
	s_waitcnt vmcnt(0)
	ds_write_b64 v1, v[5:6] offset:30720
.LBB0_14:
	s_or_b32 exec_lo, exec_lo, s4
	v_mov_b32_e32 v47, v45
.LBB0_15:
	s_or_b32 exec_lo, exec_lo, s1
	v_lshlrev_b32_e32 v1, 3, v45
	s_waitcnt lgkmcnt(0)
	s_barrier
	buffer_gl0_inv
	v_lshlrev_b64 v[87:88], 3, v[3:4]
	v_add_nc_u32_e32 v100, 0, v1
	v_sub_nc_u32_e32 v9, 0, v1
	s_add_u32 s4, s12, 0x77b0
	s_addc_u32 s5, s13, 0
	s_mov_b32 s1, exec_lo
	ds_read_b32 v1, v100
	ds_read_b32 v2, v9 offset:30720
	s_waitcnt lgkmcnt(0)
	v_add_f32_e32 v7, v2, v1
	v_sub_f32_e32 v8, v1, v2
	v_cmpx_ne_u32_e32 0, v45
	s_xor_b32 s1, exec_lo, s1
	s_cbranch_execz .LBB0_17
; %bb.16:
	v_add_co_u32 v3, s0, s4, v87
	v_add_co_ci_u32_e64 v4, s0, s5, v88, s0
	v_add_f32_e32 v7, v2, v1
	v_sub_f32_e32 v10, v1, v2
	global_load_dwordx2 v[3:4], v[3:4], off
	ds_read_b32 v5, v9 offset:30724
	ds_read_b32 v6, v100 offset:4
	s_waitcnt lgkmcnt(0)
	v_add_f32_e32 v11, v5, v6
	v_sub_f32_e32 v5, v6, v5
	s_waitcnt vmcnt(0)
	v_fma_f32 v1, -v10, v4, v7
	v_fma_f32 v2, v11, v4, -v5
	v_fma_f32 v6, v10, v4, v7
	v_fma_f32 v8, v11, v4, v5
	v_fmac_f32_e32 v1, v3, v11
	v_fmac_f32_e32 v2, v10, v3
	v_fma_f32 v7, -v3, v11, v6
	v_fmac_f32_e32 v8, v10, v3
	ds_write_b64 v9, v[1:2] offset:30720
.LBB0_17:
	s_andn2_saveexec_b32 s0, s1
	s_cbranch_execz .LBB0_19
; %bb.18:
	v_mov_b32_e32 v3, 0
	ds_read_b64 v[1:2], v3 offset:15360
	s_waitcnt lgkmcnt(0)
	v_add_f32_e32 v1, v1, v1
	v_mul_f32_e32 v2, -2.0, v2
	ds_write_b64 v3, v[1:2] offset:15360
.LBB0_19:
	s_or_b32 exec_lo, exec_lo, s0
	v_mov_b32_e32 v46, 0
	v_or_b32_e32 v89, 0x100, v45
	v_or_b32_e32 v83, 0x200, v45
	;; [unrolled: 1-line block ×4, first 2 shown]
	v_lshlrev_b64 v[81:82], 3, v[45:46]
	v_mov_b32_e32 v90, v46
	v_mov_b32_e32 v84, v46
	;; [unrolled: 1-line block ×5, first 2 shown]
	v_add_co_u32 v1, s0, s4, v81
	v_add_co_ci_u32_e64 v2, s0, s5, v82, s0
	v_lshlrev_b64 v[71:72], 3, v[89:90]
	v_lshlrev_b64 v[64:65], 3, v[83:84]
	v_or_b32_e32 v84, 0x280, v45
	global_load_dwordx2 v[10:11], v[1:2], off offset:1024
	v_lshlrev_b64 v[62:63], 3, v[66:67]
	v_mov_b32_e32 v74, v46
	v_add_co_u32 v1, s0, s4, v71
	v_add_co_ci_u32_e64 v2, s0, s5, v72, s0
	v_lshlrev_b64 v[67:68], 3, v[84:85]
	v_or_b32_e32 v85, 0x300, v45
	v_lshlrev_b64 v[48:49], 3, v[73:74]
	global_load_dwordx2 v[12:13], v[1:2], off
	ds_write_b64 v100, v[7:8]
	v_or_b32_e32 v74, 0x480, v45
	v_lshlrev_b64 v[69:70], 3, v[85:86]
	v_or_b32_e32 v86, 0x380, v0
	v_mov_b32_e32 v75, v46
	v_mov_b32_e32 v76, v46
	;; [unrolled: 1-line block ×4, first 2 shown]
	v_lshlrev_b32_e32 v101, 3, v86
	v_lshlrev_b64 v[50:51], 3, v[74:75]
	v_or_b32_e32 v75, 0x500, v45
	v_mov_b32_e32 v79, v46
	v_mov_b32_e32 v80, v46
	global_load_dwordx2 v[3:4], v101, s[4:5]
	v_add_co_u32 v1, s0, s4, v62
	v_add_co_ci_u32_e64 v2, s0, s5, v63, s0
	v_lshlrev_b64 v[52:53], 3, v[75:76]
	v_or_b32_e32 v76, 0x580, v45
	global_load_dwordx2 v[14:15], v[1:2], off
	v_add_co_u32 v1, s0, s4, v64
	v_add_co_ci_u32_e64 v2, s0, s5, v65, s0
	v_lshlrev_b64 v[54:55], 3, v[76:77]
	v_or_b32_e32 v77, 0x600, v45
	global_load_dwordx2 v[16:17], v[1:2], off
	v_add_co_u32 v1, s0, s4, v67
	v_add_co_ci_u32_e64 v2, s0, s5, v68, s0
	v_lshlrev_b64 v[56:57], 3, v[77:78]
	v_or_b32_e32 v78, 0x680, v45
	global_load_dwordx2 v[5:6], v[1:2], off
	v_add_co_u32 v1, s0, s4, v69
	v_add_co_ci_u32_e64 v2, s0, s5, v70, s0
	v_add_co_u32 v7, s0, s4, v48
	v_add_co_ci_u32_e64 v8, s0, s5, v49, s0
	global_load_dwordx2 v[1:2], v[1:2], off
	ds_read_b64 v[18:19], v100 offset:1024
	ds_read_b64 v[20:21], v9 offset:29696
	v_lshlrev_b64 v[58:59], 3, v[78:79]
	global_load_dwordx2 v[7:8], v[7:8], off
	v_or_b32_e32 v79, 0x700, v45
	v_lshlrev_b64 v[60:61], 3, v[79:80]
	v_add_nc_u32_e32 v80, 0, v101
	s_waitcnt lgkmcnt(0)
	v_add_f32_e32 v22, v18, v20
	v_add_f32_e32 v23, v21, v19
	v_sub_f32_e32 v24, v18, v20
	v_sub_f32_e32 v18, v19, v21
	s_waitcnt vmcnt(7)
	v_fma_f32 v25, v24, v11, v22
	v_fma_f32 v19, v23, v11, v18
	v_fma_f32 v20, -v24, v11, v22
	v_fma_f32 v21, v23, v11, -v18
	v_fma_f32 v18, -v10, v23, v25
	v_fmac_f32_e32 v19, v24, v10
	v_fmac_f32_e32 v20, v10, v23
	;; [unrolled: 1-line block ×3, first 2 shown]
	ds_write_b64 v100, v[18:19] offset:1024
	ds_write_b64 v9, v[20:21] offset:29696
	v_add_co_u32 v20, s0, s4, v50
	ds_read_b64 v[10:11], v100 offset:2048
	ds_read_b64 v[18:19], v9 offset:28672
	v_add_co_ci_u32_e64 v21, s0, s5, v51, s0
	global_load_dwordx2 v[20:21], v[20:21], off
	s_waitcnt lgkmcnt(0)
	v_add_f32_e32 v22, v10, v18
	v_add_f32_e32 v23, v19, v11
	v_sub_f32_e32 v24, v10, v18
	v_sub_f32_e32 v10, v11, v19
	s_waitcnt vmcnt(7)
	v_fma_f32 v25, v24, v13, v22
	v_fma_f32 v11, v23, v13, v10
	v_fma_f32 v18, -v24, v13, v22
	v_fma_f32 v19, v23, v13, -v10
	v_fma_f32 v10, -v12, v23, v25
	v_fmac_f32_e32 v11, v24, v12
	v_fmac_f32_e32 v18, v12, v23
	;; [unrolled: 1-line block ×3, first 2 shown]
	ds_write_b64 v100, v[10:11] offset:2048
	ds_write_b64 v9, v[18:19] offset:28672
	v_add_co_u32 v18, s0, s4, v52
	v_add_co_ci_u32_e64 v19, s0, s5, v53, s0
	ds_read_b64 v[10:11], v100 offset:3072
	ds_read_b64 v[12:13], v9 offset:27648
	global_load_dwordx2 v[18:19], v[18:19], off
	s_waitcnt lgkmcnt(0)
	v_add_f32_e32 v22, v10, v12
	v_add_f32_e32 v23, v13, v11
	v_sub_f32_e32 v24, v10, v12
	v_sub_f32_e32 v10, v11, v13
	s_waitcnt vmcnt(6)
	v_fma_f32 v25, v24, v15, v22
	v_fma_f32 v11, v23, v15, v10
	v_fma_f32 v12, -v24, v15, v22
	v_fma_f32 v13, v23, v15, -v10
	v_fma_f32 v10, -v14, v23, v25
	v_fmac_f32_e32 v11, v24, v14
	v_fmac_f32_e32 v12, v14, v23
	;; [unrolled: 1-line block ×3, first 2 shown]
	v_add_co_u32 v14, s0, s4, v54
	v_add_co_ci_u32_e64 v15, s0, s5, v55, s0
	ds_write_b64 v100, v[10:11] offset:3072
	ds_write_b64 v9, v[12:13] offset:27648
	ds_read_b64 v[10:11], v100 offset:4096
	ds_read_b64 v[12:13], v9 offset:26624
	global_load_dwordx2 v[14:15], v[14:15], off
	s_waitcnt lgkmcnt(0)
	v_add_f32_e32 v22, v10, v12
	v_add_f32_e32 v23, v13, v11
	v_sub_f32_e32 v24, v10, v12
	v_sub_f32_e32 v10, v11, v13
	s_waitcnt vmcnt(6)
	v_fma_f32 v25, v24, v17, v22
	v_fma_f32 v11, v23, v17, v10
	v_fma_f32 v12, -v24, v17, v22
	v_fma_f32 v13, v23, v17, -v10
	v_fma_f32 v10, -v16, v23, v25
	v_fmac_f32_e32 v11, v24, v16
	v_fmac_f32_e32 v12, v16, v23
	;; [unrolled: 1-line block ×3, first 2 shown]
	v_add_co_u32 v16, s0, s4, v56
	v_add_co_ci_u32_e64 v17, s0, s5, v57, s0
	ds_write_b64 v100, v[10:11] offset:4096
	ds_write_b64 v9, v[12:13] offset:26624
	ds_read_b64 v[10:11], v100 offset:5120
	ds_read_b64 v[12:13], v9 offset:25600
	global_load_dwordx2 v[16:17], v[16:17], off
	s_waitcnt lgkmcnt(0)
	v_add_f32_e32 v22, v10, v12
	v_add_f32_e32 v24, v13, v11
	v_sub_f32_e32 v25, v10, v12
	v_sub_f32_e32 v10, v11, v13
	s_waitcnt vmcnt(6)
	v_fma_f32 v26, v25, v6, v22
	v_fma_f32 v11, v24, v6, v10
	v_fma_f32 v12, -v25, v6, v22
	v_add_co_u32 v22, s0, s4, v58
	v_fma_f32 v13, v24, v6, -v10
	v_add_co_ci_u32_e64 v23, s0, s5, v59, s0
	v_fma_f32 v10, -v5, v24, v26
	v_fmac_f32_e32 v11, v25, v5
	v_fmac_f32_e32 v12, v5, v24
	;; [unrolled: 1-line block ×3, first 2 shown]
	global_load_dwordx2 v[5:6], v[22:23], off
	ds_write_b64 v100, v[10:11] offset:5120
	ds_write_b64 v9, v[12:13] offset:25600
	ds_read_b64 v[10:11], v100 offset:6144
	ds_read_b64 v[12:13], v9 offset:24576
	s_waitcnt lgkmcnt(0)
	v_add_f32_e32 v22, v10, v12
	v_sub_f32_e32 v25, v10, v12
	v_add_f32_e32 v24, v13, v11
	v_sub_f32_e32 v10, v11, v13
	s_waitcnt vmcnt(6)
	v_fma_f32 v26, v25, v2, v22
	v_fma_f32 v12, -v25, v2, v22
	v_add_co_u32 v22, s0, s4, v60
	v_fma_f32 v11, v24, v2, v10
	v_fma_f32 v13, v24, v2, -v10
	v_add_co_ci_u32_e64 v23, s0, s5, v61, s0
	v_fma_f32 v10, -v1, v24, v26
	v_fmac_f32_e32 v11, v25, v1
	v_fmac_f32_e32 v12, v1, v24
	v_fmac_f32_e32 v13, v25, v1
	global_load_dwordx2 v[1:2], v[22:23], off
	ds_write_b64 v100, v[10:11] offset:6144
	ds_write_b64 v9, v[12:13] offset:24576
	ds_read_b64 v[10:11], v80
	ds_read_b64 v[12:13], v9 offset:23552
	v_cmp_gt_u32_e64 s0, 0x78, v45
	s_waitcnt lgkmcnt(0)
	v_add_f32_e32 v22, v10, v12
	v_add_f32_e32 v23, v13, v11
	v_sub_f32_e32 v24, v10, v12
	v_sub_f32_e32 v10, v11, v13
	v_fma_f32 v25, v24, v4, v22
	v_fma_f32 v11, v23, v4, v10
	v_fma_f32 v12, -v24, v4, v22
	v_fma_f32 v13, v23, v4, -v10
	v_fma_f32 v10, -v3, v23, v25
	v_fmac_f32_e32 v11, v24, v3
	v_fmac_f32_e32 v12, v3, v23
	;; [unrolled: 1-line block ×3, first 2 shown]
	ds_write_b64 v80, v[10:11]
	ds_write_b64 v9, v[12:13] offset:23552
	ds_read_b64 v[3:4], v100 offset:8192
	ds_read_b64 v[10:11], v9 offset:22528
	s_waitcnt lgkmcnt(0)
	v_add_f32_e32 v12, v3, v10
	v_add_f32_e32 v13, v11, v4
	v_sub_f32_e32 v22, v3, v10
	v_sub_f32_e32 v3, v4, v11
	s_waitcnt vmcnt(6)
	v_fma_f32 v23, v22, v8, v12
	v_fma_f32 v4, v13, v8, v3
	v_fma_f32 v10, -v22, v8, v12
	v_fma_f32 v11, v13, v8, -v3
	v_fma_f32 v3, -v7, v13, v23
	v_fmac_f32_e32 v4, v22, v7
	v_fmac_f32_e32 v10, v7, v13
	v_fmac_f32_e32 v11, v22, v7
	ds_write_b64 v100, v[3:4] offset:8192
	ds_write_b64 v9, v[10:11] offset:22528
	ds_read_b64 v[3:4], v100 offset:9216
	ds_read_b64 v[7:8], v9 offset:21504
	s_waitcnt lgkmcnt(0)
	v_add_f32_e32 v10, v3, v7
	v_sub_f32_e32 v11, v3, v7
	v_add_f32_e32 v12, v8, v4
	v_sub_f32_e32 v4, v4, v8
	s_waitcnt vmcnt(5)
	v_fma_f32 v7, v11, v21, v10
	v_fma_f32 v8, v12, v21, v4
	v_fma_f32 v3, -v11, v21, v10
	v_fma_f32 v4, v12, v21, -v4
	v_fma_f32 v7, -v20, v12, v7
	v_fmac_f32_e32 v8, v11, v20
	v_fmac_f32_e32 v3, v20, v12
	v_fmac_f32_e32 v4, v11, v20
	ds_write_b64 v100, v[7:8] offset:9216
	ds_write_b64 v9, v[3:4] offset:21504
	ds_read_b64 v[3:4], v100 offset:10240
	ds_read_b64 v[7:8], v9 offset:20480
	s_waitcnt lgkmcnt(0)
	v_add_f32_e32 v10, v3, v7
	v_sub_f32_e32 v11, v3, v7
	v_add_f32_e32 v12, v8, v4
	;; [unrolled: 18-line block ×5, first 2 shown]
	v_sub_f32_e32 v4, v4, v8
	s_waitcnt vmcnt(1)
	v_fma_f32 v8, v11, v6, v10
	v_fma_f32 v3, -v11, v6, v10
	v_fma_f32 v7, v12, v6, v4
	v_fma_f32 v4, v12, v6, -v4
	v_fma_f32 v6, -v5, v12, v8
	v_fmac_f32_e32 v3, v5, v12
	v_fmac_f32_e32 v7, v11, v5
	;; [unrolled: 1-line block ×3, first 2 shown]
	ds_write_b64 v100, v[6:7] offset:13312
	ds_write_b64 v9, v[3:4] offset:17408
	ds_read_b64 v[3:4], v100 offset:14336
	ds_read_b64 v[5:6], v9 offset:16384
	s_waitcnt lgkmcnt(0)
	v_add_f32_e32 v7, v3, v5
	v_sub_f32_e32 v8, v3, v5
	v_add_f32_e32 v10, v6, v4
	v_sub_f32_e32 v4, v4, v6
	s_waitcnt vmcnt(0)
	v_fma_f32 v5, v8, v2, v7
	v_fma_f32 v6, v10, v2, v4
	v_fma_f32 v3, -v8, v2, v7
	v_fma_f32 v4, v10, v2, -v4
	v_fma_f32 v5, -v1, v10, v5
	v_fmac_f32_e32 v6, v8, v1
	v_fmac_f32_e32 v3, v1, v10
	;; [unrolled: 1-line block ×3, first 2 shown]
	ds_write_b64 v100, v[5:6] offset:14336
	ds_write_b64 v9, v[3:4] offset:16384
	s_waitcnt lgkmcnt(0)
	s_barrier
	buffer_gl0_inv
	s_barrier
	buffer_gl0_inv
	ds_read2st64_b64 v[25:28], v100 offset0:20 offset1:22
	ds_read2st64_b64 v[9:12], v100 offset0:32 offset1:34
	;; [unrolled: 1-line block ×8, first 2 shown]
	ds_read2st64_b64 v[1:4], v100 offset1:2
	ds_read2st64_b64 v[21:24], v100 offset0:8 offset1:10
	ds_read2st64_b64 v[5:8], v100 offset0:4 offset1:6
	s_waitcnt lgkmcnt(9)
	v_sub_f32_e32 v29, v25, v9
	v_sub_f32_e32 v32, v26, v10
	s_waitcnt lgkmcnt(7)
	v_sub_f32_e32 v37, v25, v13
	v_sub_f32_e32 v38, v26, v14
	;; [unrolled: 1-line block ×4, first 2 shown]
	v_add_f32_e32 v94, v25, v13
	v_add_f32_e32 v95, v26, v14
	s_waitcnt lgkmcnt(1)
	v_add_f32_e32 v121, v21, v25
	v_add_f32_e32 v122, v22, v26
	;; [unrolled: 1-line block ×6, first 2 shown]
	v_sub_f32_e32 v34, v9, v17
	v_sub_f32_e32 v31, v10, v18
	;; [unrolled: 1-line block ×3, first 2 shown]
	v_add_f32_e32 v119, v3, v105
	v_add_f32_e32 v120, v4, v106
	v_sub_f32_e32 v98, v105, v117
	v_sub_f32_e32 v124, v109, v105
	v_add_f32_e32 v93, v105, v117
	v_add_f32_e32 v135, v11, v19
	v_sub_f32_e32 v102, v12, v20
	v_sub_f32_e32 v136, v27, v11
	;; [unrolled: 1-line block ×3, first 2 shown]
	v_add_f32_e32 v138, v12, v20
	v_sub_f32_e32 v105, v11, v19
	v_sub_f32_e32 v139, v28, v12
	;; [unrolled: 1-line block ×4, first 2 shown]
	v_add_f32_e32 v141, v27, v15
	v_sub_f32_e32 v134, v27, v15
	v_add_f32_e32 v142, v28, v16
	v_add_f32_e32 v27, v1, v103
	;; [unrolled: 1-line block ×7, first 2 shown]
	v_sub_f32_e32 v30, v13, v17
	v_sub_f32_e32 v33, v14, v18
	;; [unrolled: 1-line block ×3, first 2 shown]
	v_add_f32_e32 v123, v110, v114
	v_sub_f32_e32 v99, v106, v118
	v_sub_f32_e32 v90, v110, v114
	v_add_f32_e32 v127, v106, v118
	v_sub_f32_e32 v106, v110, v106
	v_sub_f32_e32 v130, v17, v13
	;; [unrolled: 1-line block ×4, first 2 shown]
	v_add_f32_e32 v144, v103, v115
	v_sub_f32_e32 v121, v103, v107
	v_sub_f32_e32 v147, v107, v103
	;; [unrolled: 1-line block ×5, first 2 shown]
	v_add_f32_e32 v150, v107, v111
	v_add_f32_e32 v151, v108, v112
	v_sub_f32_e32 v152, v108, v112
	v_add_f32_e32 v26, v120, v110
	v_add_f32_e32 v27, v27, v107
	;; [unrolled: 1-line block ×3, first 2 shown]
	v_sub_f32_e32 v153, v107, v111
	v_sub_f32_e32 v107, v19, v15
	;; [unrolled: 1-line block ×4, first 2 shown]
	v_add_f32_e32 v17, v9, v17
	v_add_f32_e32 v18, v10, v18
	;; [unrolled: 1-line block ×4, first 2 shown]
	ds_read2st64_b64 v[9:12], v100 offset0:16 offset1:18
	v_add_f32_e32 v156, v17, v13
	v_add_f32_e32 v157, v18, v14
	;; [unrolled: 1-line block ×4, first 2 shown]
	ds_read2st64_b64 v[13:16], v100 offset0:28 offset1:30
	v_add_f32_e32 v25, v119, v109
	v_add_f32_e32 v26, v26, v114
	;; [unrolled: 1-line block ×4, first 2 shown]
	v_sub_f32_e32 v36, v117, v113
	v_add_f32_e32 v25, v25, v113
	v_add_f32_e32 v161, v26, v118
	;; [unrolled: 1-line block ×4, first 2 shown]
	v_sub_f32_e32 v97, v118, v114
	v_add_f32_e32 v160, v25, v117
	v_add_f32_e32 v92, v109, v113
	v_sub_f32_e32 v91, v109, v113
	v_sub_f32_e32 v125, v113, v117
	s_waitcnt lgkmcnt(1)
	v_add_f32_e32 v17, v5, v9
	v_add_f32_e32 v18, v6, v10
	;; [unrolled: 1-line block ×4, first 2 shown]
	v_sub_f32_e32 v128, v114, v118
	s_waitcnt lgkmcnt(0)
	v_add_f32_e32 v25, v17, v13
	v_add_f32_e32 v26, v18, v14
	;; [unrolled: 1-line block ×4, first 2 shown]
	ds_read2st64_b64 v[17:20], v100 offset0:40 offset1:42
	v_add_f32_e32 v145, v104, v116
	v_sub_f32_e32 v146, v104, v116
	v_sub_f32_e32 v119, v115, v111
	;; [unrolled: 1-line block ×13, first 2 shown]
	v_add_f32_e32 v131, v106, v128
	v_add_f32_e32 v33, v32, v33
	;; [unrolled: 1-line block ×5, first 2 shown]
	s_waitcnt lgkmcnt(0)
	v_add_f32_e32 v164, v13, v17
	v_add_f32_e32 v113, v14, v18
	v_sub_f32_e32 v165, v14, v18
	v_sub_f32_e32 v166, v13, v17
	v_add_f32_e32 v167, v15, v19
	v_sub_f32_e32 v168, v16, v20
	v_add_f32_e32 v170, v16, v20
	v_sub_f32_e32 v171, v15, v19
	ds_read2st64_b64 v[13:16], v100 offset0:52 offset1:54
	v_add_f32_e32 v104, v124, v125
	v_add_f32_e32 v110, v139, v110
	;; [unrolled: 1-line block ×4, first 2 shown]
	v_mul_u32_u24_e32 v139, 10, v45
	s_waitcnt lgkmcnt(0)
	s_barrier
	buffer_gl0_inv
	v_lshl_add_u32 v139, v139, 3, 0
	v_add_nc_u32_e32 v143, 0x2800, v139
	v_sub_f32_e32 v177, v12, v16
	v_add_f32_e32 v180, v12, v16
	v_add_f32_e32 v12, v27, v19
	v_sub_f32_e32 v118, v13, v17
	v_sub_f32_e32 v120, v14, v18
	;; [unrolled: 1-line block ×3, first 2 shown]
	v_fma_f32 v27, -0.5, v138, v24
	v_fmac_f32_e32 v24, -0.5, v142
	v_sub_f32_e32 v175, v9, v13
	v_add_f32_e32 v176, v9, v13
	v_add_f32_e32 v178, v11, v15
	v_sub_f32_e32 v179, v11, v15
	v_add_f32_e32 v9, v25, v17
	v_add_f32_e32 v11, v26, v18
	;; [unrolled: 1-line block ×3, first 2 shown]
	v_sub_f32_e32 v18, v18, v14
	v_add_f32_e32 v28, v29, v30
	v_add_f32_e32 v30, v96, v97
	;; [unrolled: 1-line block ×7, first 2 shown]
	v_fmamk_f32 v96, v105, 0xbf737871, v24
	v_fmac_f32_e32 v24, 0x3f737871, v105
	v_fma_f32 v117, -0.5, v40, v22
	v_fma_f32 v40, -0.5, v93, v3
	;; [unrolled: 1-line block ×4, first 2 shown]
	v_add_f32_e32 v36, v116, v18
	v_add_f32_e32 v119, v103, v122
	v_fma_f32 v103, -0.5, v39, v21
	v_fmac_f32_e32 v24, 0xbf167918, v134
	v_fma_f32 v116, -0.5, v94, v21
	v_fma_f32 v97, -0.5, v141, v23
	v_fmamk_f32 v93, v90, 0x3f737871, v40
	v_fmac_f32_e32 v40, 0xbf737871, v90
	v_fmamk_f32 v130, v34, 0xbf737871, v121
	v_fmac_f32_e32 v121, 0x3f737871, v34
	;; [unrolled: 2-line block ×3, first 2 shown]
	v_fmac_f32_e32 v96, 0x3f167918, v134
	v_fmamk_f32 v134, v126, 0xbf737871, v95
	v_fmac_f32_e32 v95, 0x3f737871, v126
	v_sub_f32_e32 v174, v10, v14
	v_fma_f32 v26, -0.5, v123, v4
	v_fmac_f32_e32 v4, -0.5, v127
	v_fmac_f32_e32 v93, 0xbf167918, v99
	v_fmac_f32_e32 v40, 0x3f167918, v99
	v_fmamk_f32 v125, v31, 0x3f737871, v116
	v_fmac_f32_e32 v116, 0xbf737871, v31
	v_fmamk_f32 v128, v38, 0xbf737871, v103
	;; [unrolled: 2-line block ×3, first 2 shown]
	v_fmac_f32_e32 v117, 0xbf737871, v37
	v_fmac_f32_e32 v130, 0x3f167918, v37
	;; [unrolled: 1-line block ×3, first 2 shown]
	v_fma_f32 v23, -0.5, v150, v1
	v_fma_f32 v37, -0.5, v144, v1
	;; [unrolled: 1-line block ×3, first 2 shown]
	v_fmamk_f32 v127, v102, 0x3f737871, v97
	v_fmac_f32_e32 v97, 0xbf737871, v102
	v_fmac_f32_e32 v134, 0xbf167918, v102
	;; [unrolled: 1-line block ×3, first 2 shown]
	v_or_b32_e32 v102, 0x80, v45
	v_fmac_f32_e32 v125, 0xbf167918, v38
	v_fmac_f32_e32 v116, 0x3f167918, v38
	v_fma_f32 v123, -0.5, v170, v8
	v_fma_f32 v124, -0.5, v180, v8
	v_fmac_f32_e32 v128, 0xbf167918, v31
	v_fmac_f32_e32 v103, 0x3f167918, v31
	v_fmamk_f32 v8, v174, 0xbf737871, v1
	v_fmac_f32_e32 v1, 0x3f737871, v174
	v_mov_b32_e32 v141, 0xcccd
	v_fmac_f32_e32 v93, 0x3e9e377a, v104
	v_fmac_f32_e32 v40, 0x3e9e377a, v104
	v_and_b32_e32 v104, 0xff, v102
	v_fmamk_f32 v22, v98, 0x3f737871, v26
	v_fmac_f32_e32 v26, 0xbf737871, v98
	v_fma_f32 v38, -0.5, v145, v2
	v_fmac_f32_e32 v133, 0x3f167918, v105
	v_fmac_f32_e32 v27, 0xbf167918, v105
	;; [unrolled: 1-line block ×6, first 2 shown]
	v_mul_u32_u24_sdwa v115, v66, v141 dst_sel:DWORD dst_unused:UNUSED_PAD src0_sel:WORD_0 src1_sel:DWORD
	v_fmac_f32_e32 v128, 0x3e9e377a, v28
	v_fmac_f32_e32 v103, 0x3e9e377a, v28
	v_mul_lo_u16 v28, 0xcd, v104
	v_sub_f32_e32 v182, v16, v20
	v_sub_f32_e32 v20, v20, v16
	v_fmamk_f32 v94, v91, 0xbf737871, v4
	v_fmac_f32_e32 v4, 0x3f737871, v91
	v_fmac_f32_e32 v129, 0x3f167918, v34
	;; [unrolled: 1-line block ×5, first 2 shown]
	v_fmamk_f32 v91, v153, 0xbf737871, v38
	v_fmac_f32_e32 v38, 0x3f737871, v153
	v_fmamk_f32 v137, v171, 0xbf737871, v124
	v_fmac_f32_e32 v124, 0x3f737871, v171
	v_fmac_f32_e32 v133, 0x3e9e377a, v110
	;; [unrolled: 1-line block ×5, first 2 shown]
	v_lshrrev_b32_e32 v108, 19, v115
	v_lshrrev_b16 v110, 11, v28
	v_add_f32_e32 v16, v25, v16
	v_fma_f32 v25, -0.5, v113, v6
	v_fmac_f32_e32 v24, 0x3e9e377a, v29
	v_add_f32_e32 v111, v149, v155
	v_fma_f32 v39, -0.5, v92, v3
	v_add_f32_e32 v113, v173, v20
	v_fmac_f32_e32 v94, 0x3f167918, v98
	v_fmac_f32_e32 v4, 0xbf167918, v98
	v_fma_f32 v98, -0.5, v167, v7
	v_fmac_f32_e32 v91, 0x3f167918, v148
	v_fmac_f32_e32 v38, 0xbf167918, v148
	v_fmamk_f32 v138, v179, 0x3f737871, v123
	v_fmac_f32_e32 v137, 0x3f167918, v179
	v_fmac_f32_e32 v124, 0xbf167918, v179
	;; [unrolled: 1-line block ×5, first 2 shown]
	v_mul_lo_u16 v29, v108, 10
	v_mul_lo_u16 v33, v110, 10
	v_fmamk_f32 v31, v175, 0x3f737871, v25
	v_fmac_f32_e32 v25, 0xbf737871, v175
	v_mul_f32_e32 v3, 0xbf737871, v24
	v_mul_f32_e32 v92, 0xbe9e377a, v24
	v_fma_f32 v24, -0.5, v151, v2
	v_add_f32_e32 v122, v172, v182
	v_fmamk_f32 v21, v99, 0xbf737871, v39
	v_fmac_f32_e32 v39, 0x3f737871, v99
	v_fma_f32 v99, -0.5, v178, v7
	v_fmac_f32_e32 v127, 0xbf167918, v126
	v_fmamk_f32 v136, v177, 0xbf737871, v98
	v_fmac_f32_e32 v138, 0x3f167918, v171
	v_and_b32_e32 v105, 0xff, v45
	v_fmac_f32_e32 v91, 0x3e9e377a, v111
	v_fmac_f32_e32 v38, 0x3e9e377a, v111
	v_fmac_f32_e32 v137, 0x3e9e377a, v113
	v_fmac_f32_e32 v124, 0x3e9e377a, v113
	v_sub_nc_u16 v111, v66, v29
	v_sub_nc_u16 v113, v102, v33
	v_mul_f32_e32 v29, 0xbf167918, v129
	v_mul_f32_e32 v33, 0x3f167918, v128
	v_fmac_f32_e32 v31, 0x3f167918, v166
	v_fmac_f32_e32 v25, 0xbf167918, v166
	;; [unrolled: 1-line block ×4, first 2 shown]
	v_mul_u32_u24_sdwa v131, v89, v141 dst_sel:DWORD dst_unused:UNUSED_PAD src0_sel:WORD_0 src1_sel:DWORD
	v_mul_u32_u24_sdwa v141, v83, v141 dst_sel:DWORD dst_unused:UNUSED_PAD src0_sel:WORD_0 src1_sel:DWORD
	v_add_f32_e32 v10, v10, v14
	v_fmac_f32_e32 v97, 0x3f167918, v126
	v_fmamk_f32 v126, v148, 0x3f737871, v24
	v_fmac_f32_e32 v24, 0xbf737871, v148
	v_fmac_f32_e32 v98, 0x3f737871, v177
	v_sub_f32_e32 v17, v17, v13
	v_sub_f32_e32 v19, v19, v15
	v_fmamk_f32 v135, v168, 0x3f737871, v99
	v_fmac_f32_e32 v123, 0xbf737871, v179
	v_fmac_f32_e32 v136, 0xbf167918, v168
	v_mul_lo_u16 v142, 0xcd, v105
	v_fmac_f32_e32 v127, 0x3e9e377a, v35
	v_fmac_f32_e32 v138, 0x3e9e377a, v122
	;; [unrolled: 1-line block ×4, first 2 shown]
	v_mul_f32_e32 v128, 0xbf737871, v96
	v_mul_f32_e32 v129, 0x3e9e377a, v96
	v_fmac_f32_e32 v21, 0xbf167918, v90
	v_fmac_f32_e32 v39, 0x3f167918, v90
	v_fmamk_f32 v34, v152, 0x3f737871, v37
	v_fmac_f32_e32 v37, 0xbf737871, v152
	v_fmamk_f32 v90, v146, 0xbf737871, v23
	v_fmac_f32_e32 v23, 0x3f737871, v146
	v_fmac_f32_e32 v130, 0x3e9e377a, v109
	;; [unrolled: 1-line block ×5, first 2 shown]
	v_lshrrev_b32_e32 v109, 19, v131
	v_lshrrev_b32_e32 v106, 19, v141
	v_fmac_f32_e32 v6, -0.5, v10
	v_fma_f32 v2, -0.5, v176, v5
	v_fmac_f32_e32 v126, 0x3f167918, v153
	v_fmac_f32_e32 v24, 0xbf167918, v153
	;; [unrolled: 1-line block ×3, first 2 shown]
	v_add_f32_e32 v132, v114, v17
	v_add_f32_e32 v114, v169, v19
	v_fmac_f32_e32 v99, 0xbf737871, v168
	v_fmac_f32_e32 v135, 0xbf167918, v177
	v_fmac_f32_e32 v123, 0xbf167918, v171
	v_lshrrev_b16 v115, 11, v142
	v_fmac_f32_e32 v136, 0x3e9e377a, v118
	v_fmac_f32_e32 v128, 0x3e9e377a, v127
	;; [unrolled: 1-line block ×3, first 2 shown]
	v_mul_f32_e32 v127, 0xbf167918, v138
	v_add_f32_e32 v112, v147, v154
	v_fmac_f32_e32 v34, 0xbf167918, v146
	v_fmac_f32_e32 v37, 0x3f167918, v146
	;; [unrolled: 1-line block ×6, first 2 shown]
	v_mul_lo_u16 v28, v109, 10
	v_mul_lo_u16 v30, v106, 10
	v_fmamk_f32 v5, v166, 0xbf737871, v6
	v_fmac_f32_e32 v6, 0x3f737871, v166
	v_fmamk_f32 v7, v165, 0x3f737871, v2
	v_fmac_f32_e32 v2, 0xbf737871, v165
	v_fmac_f32_e32 v134, 0x3e9e377a, v107
	;; [unrolled: 1-line block ×5, first 2 shown]
	v_mul_f32_e32 v118, 0xbf737871, v130
	v_mul_f32_e32 v119, 0x3e9e377a, v130
	v_fmac_f32_e32 v99, 0x3f167918, v177
	v_mov_b32_e32 v140, 5
	v_fmac_f32_e32 v21, 0x3e9e377a, v32
	v_fmac_f32_e32 v39, 0x3e9e377a, v32
	;; [unrolled: 1-line block ×3, first 2 shown]
	v_mul_lo_u16 v32, v115, 10
	v_fmac_f32_e32 v123, 0x3e9e377a, v122
	v_mul_f32_e32 v130, 0x3f167918, v136
	v_fmac_f32_e32 v127, 0x3f4f1bbd, v136
	v_mul_f32_e32 v131, 0xbf737871, v137
	v_mul_f32_e32 v136, 0x3e9e377a, v137
	v_fmac_f32_e32 v95, 0x3e9e377a, v107
	v_fmac_f32_e32 v34, 0x3e9e377a, v112
	;; [unrolled: 1-line block ×3, first 2 shown]
	v_sub_nc_u16 v112, v89, v28
	v_sub_nc_u16 v107, v83, v30
	v_fmac_f32_e32 v90, 0x3e9e377a, v120
	v_fmac_f32_e32 v23, 0x3e9e377a, v120
	v_mul_f32_e32 v120, 0xbf737871, v121
	v_mul_f32_e32 v30, 0xbe9e377a, v121
	;; [unrolled: 1-line block ×4, first 2 shown]
	v_fmac_f32_e32 v6, 0xbf167918, v175
	v_fmac_f32_e32 v97, 0x3e9e377a, v35
	v_fmac_f32_e32 v2, 0x3f167918, v174
	v_fmac_f32_e32 v118, 0x3e9e377a, v125
	v_fmac_f32_e32 v119, 0x3f737871, v125
	v_mul_f32_e32 v125, 0x3f167918, v134
	v_mul_f32_e32 v142, 0xbf4f1bbd, v27
	v_fmac_f32_e32 v7, 0xbf167918, v174
	v_fmac_f32_e32 v5, 0x3f167918, v175
	;; [unrolled: 1-line block ×3, first 2 shown]
	v_sub_nc_u16 v114, v45, v32
	v_mul_f32_e32 v122, 0xbf167918, v133
	v_mul_u32_u24_sdwa v32, v113, v140 dst_sel:DWORD dst_unused:UNUSED_PAD src0_sel:BYTE_0 src1_sel:DWORD
	v_mul_f32_e32 v141, 0xbf167918, v27
	v_fmac_f32_e32 v130, 0x3f4f1bbd, v138
	v_mul_f32_e32 v137, 0xbf737871, v124
	v_mul_f32_e32 v138, 0xbe9e377a, v124
	v_fmac_f32_e32 v131, 0x3e9e377a, v135
	v_fmac_f32_e32 v136, 0x3f737871, v135
	v_mul_f32_e32 v135, 0xbf167918, v123
	v_mul_f32_e32 v152, 0xbf4f1bbd, v123
	v_mul_u32_u24_sdwa v28, v112, v140 dst_sel:DWORD dst_unused:UNUSED_PAD src0_sel:WORD_0 src1_sel:DWORD
	v_fmac_f32_e32 v120, 0xbe9e377a, v116
	v_fmac_f32_e32 v30, 0x3f737871, v116
	;; [unrolled: 1-line block ×10, first 2 shown]
	v_add_f32_e32 v13, v9, v13
	v_add_f32_e32 v11, v11, v14
	;; [unrolled: 1-line block ×5, first 2 shown]
	v_fmac_f32_e32 v7, 0x3e9e377a, v132
	v_fmac_f32_e32 v5, 0x3e9e377a, v36
	v_mul_u32_u24_sdwa v103, v111, v140 dst_sel:DWORD dst_unused:UNUSED_PAD src0_sel:WORD_0 src1_sel:DWORD
	v_fmac_f32_e32 v122, 0x3f4f1bbd, v134
	v_lshlrev_b32_e32 v134, 3, v32
	v_fmac_f32_e32 v141, 0xbf4f1bbd, v95
	v_fmac_f32_e32 v137, 0xbe9e377a, v99
	;; [unrolled: 1-line block ×5, first 2 shown]
	v_add_f32_e32 v35, v21, v29
	v_add_f32_e32 v36, v22, v33
	v_add_nc_u32_e32 v144, 0x2810, v139
	v_lshlrev_b32_e32 v133, 3, v28
	v_add_f32_e32 v28, v4, v30
	v_add_f32_e32 v95, v93, v118
	;; [unrolled: 1-line block ×4, first 2 shown]
	v_sub_f32_e32 v19, v160, v156
	v_sub_f32_e32 v20, v161, v157
	v_add_nc_u32_e32 v145, 0x2820, v139
	v_add_f32_e32 v97, v39, v121
	v_add_f32_e32 v98, v26, v117
	v_add_nc_u32_e32 v146, 0x2830, v139
	v_sub_f32_e32 v30, v4, v30
	v_add_f32_e32 v32, v6, v92
	v_sub_f32_e32 v4, v6, v92
	v_sub_f32_e32 v21, v21, v29
	;; [unrolled: 1-line block ×5, first 2 shown]
	v_add_nc_u32_e32 v132, 0x2840, v139
	v_sub_f32_e32 v116, v39, v121
	v_sub_f32_e32 v117, v26, v117
	v_sub_f32_e32 v29, v40, v120
	v_add_f32_e32 v40, v31, v125
	v_sub_f32_e32 v119, v31, v125
	v_add_f32_e32 v31, v2, v3
	v_sub_f32_e32 v3, v2, v3
	v_sub_f32_e32 v2, v25, v142
	v_add_f32_e32 v9, v13, v158
	v_add_f32_e32 v10, v11, v159
	v_sub_f32_e32 v13, v13, v158
	v_sub_f32_e32 v14, v11, v159
	v_add_f32_e32 v11, v162, v15
	v_add_f32_e32 v12, v163, v16
	v_sub_f32_e32 v15, v162, v15
	v_sub_f32_e32 v16, v163, v16
	v_add_nc_u32_e32 v147, 0x5000, v139
	v_add_nc_u32_e32 v148, 0x5010, v139
	;; [unrolled: 1-line block ×5, first 2 shown]
	v_add_f32_e32 v39, v8, v122
	v_sub_f32_e32 v118, v8, v122
	v_add_f32_e32 v120, v7, v128
	v_add_f32_e32 v121, v5, v129
	v_sub_f32_e32 v6, v7, v128
	v_sub_f32_e32 v7, v5, v129
	v_add_f32_e32 v122, v90, v127
	v_add_f32_e32 v123, v126, v130
	v_sub_f32_e32 v124, v90, v127
	;; [unrolled: 4-line block ×6, first 2 shown]
	ds_write2_b64 v143, v[17:18], v[35:36] offset1:1
	ds_write2_b64 v144, v[95:96], v[27:28] offset1:1
	;; [unrolled: 1-line block ×10, first 2 shown]
	ds_write2_b64 v139, v[126:127], v[90:91] offset0:2 offset1:3
	ds_write2_b64 v139, v[128:129], v[15:16] offset0:4 offset1:5
	;; [unrolled: 1-line block ×4, first 2 shown]
	ds_write2_b64 v151, v[3:4], v[1:2] offset1:1
	s_waitcnt lgkmcnt(0)
	s_barrier
	buffer_gl0_inv
	s_clause 0x1
	global_load_dwordx2 v[98:99], v134, s[12:13] offset:32
	global_load_dwordx2 v[96:97], v133, s[12:13] offset:32
	v_lshlrev_b32_e32 v2, 3, v103
	v_mul_u32_u24_sdwa v1, v107, v140 dst_sel:DWORD dst_unused:UNUSED_PAD src0_sel:WORD_0 src1_sel:DWORD
	v_mul_u32_u24_sdwa v3, v114, v140 dst_sel:DWORD dst_unused:UNUSED_PAD src0_sel:BYTE_0 src1_sel:DWORD
	v_mov_b32_e32 v120, 0x1e0
	v_mov_b32_e32 v103, 3
	global_load_dwordx2 v[94:95], v2, s[12:13] offset:32
	v_lshlrev_b32_e32 v1, 3, v1
	v_lshlrev_b32_e32 v3, 3, v3
	s_clause 0xb
	global_load_dwordx2 v[92:93], v1, s[12:13] offset:32
	global_load_dwordx2 v[90:91], v3, s[12:13] offset:32
	global_load_dwordx4 v[29:32], v1, s[12:13] offset:16
	global_load_dwordx4 v[17:20], v2, s[12:13] offset:16
	;; [unrolled: 1-line block ×5, first 2 shown]
	global_load_dwordx4 v[21:24], v1, s[12:13]
	global_load_dwordx4 v[13:16], v2, s[12:13]
	;; [unrolled: 1-line block ×5, first 2 shown]
	ds_read2st64_b64 v[116:119], v100 offset0:52 offset1:54
	v_mul_u32_u24_sdwa v115, v115, v120 dst_sel:DWORD dst_unused:UNUSED_PAD src0_sel:WORD_0 src1_sel:DWORD
	v_mul_u32_u24_sdwa v110, v110, v120 dst_sel:DWORD dst_unused:UNUSED_PAD src0_sel:WORD_0 src1_sel:DWORD
	ds_read2st64_b64 v[120:123], v100 offset0:56 offset1:58
	v_mul_u32_u24_e32 v109, 0x1e0, v109
	v_mul_u32_u24_e32 v108, 0x1e0, v108
	v_lshlrev_b32_sdwa v114, v103, v114 dst_sel:DWORD dst_unused:UNUSED_PAD src0_sel:DWORD src1_sel:BYTE_0
	v_lshlrev_b32_sdwa v112, v103, v112 dst_sel:DWORD dst_unused:UNUSED_PAD src0_sel:DWORD src1_sel:WORD_0
	v_lshlrev_b32_sdwa v111, v103, v111 dst_sel:DWORD dst_unused:UNUSED_PAD src0_sel:DWORD src1_sel:WORD_0
	v_lshlrev_b32_sdwa v113, v103, v113 dst_sel:DWORD dst_unused:UNUSED_PAD src0_sel:DWORD src1_sel:BYTE_0
	v_mov_b32_e32 v157, 0x3c0
	v_add3_u32 v140, 0, v115, v114
	v_add3_u32 v141, 0, v109, v112
	;; [unrolled: 1-line block ×4, first 2 shown]
	ds_read2st64_b64 v[108:111], v100 offset0:48 offset1:50
	ds_read2st64_b64 v[112:115], v100 offset0:36 offset1:38
	;; [unrolled: 1-line block ×6, first 2 shown]
	s_waitcnt vmcnt(14) lgkmcnt(7)
	v_mul_f32_e32 v144, v117, v99
	v_mul_f32_e32 v99, v116, v99
	s_waitcnt vmcnt(13)
	v_mul_f32_e32 v145, v119, v97
	v_mul_f32_e32 v97, v118, v97
	v_fmac_f32_e32 v144, v116, v98
	v_fma_f32 v99, v117, v98, -v99
	s_waitcnt vmcnt(12) lgkmcnt(6)
	v_mul_f32_e32 v116, v121, v95
	v_mul_f32_e32 v117, v120, v95
	v_fmac_f32_e32 v145, v118, v96
	v_fma_f32 v118, v119, v96, -v97
	s_waitcnt vmcnt(11)
	v_mul_f32_e32 v119, v123, v93
	v_fmac_f32_e32 v116, v120, v94
	v_fma_f32 v117, v121, v94, -v117
	s_waitcnt vmcnt(10) lgkmcnt(5)
	v_mul_f32_e32 v120, v111, v91
	v_mul_f32_e32 v121, v110, v91
	;; [unrolled: 1-line block ×3, first 2 shown]
	s_waitcnt vmcnt(8) lgkmcnt(4)
	v_mul_f32_e32 v147, v113, v18
	v_mul_f32_e32 v18, v112, v18
	v_fmac_f32_e32 v120, v110, v90
	v_fma_f32 v90, v111, v90, -v121
	v_mul_f32_e32 v121, v115, v30
	v_mul_f32_e32 v30, v114, v30
	ds_read2st64_b64 v[95:98], v100 offset0:16 offset1:18
	v_fmac_f32_e32 v119, v122, v92
	v_fma_f32 v122, v123, v92, -v93
	v_fmac_f32_e32 v121, v114, v29
	v_fma_f32 v114, v115, v29, -v30
	s_waitcnt lgkmcnt(4)
	v_mul_f32_e32 v115, v127, v20
	v_mul_f32_e32 v20, v126, v20
	ds_read2st64_b64 v[91:94], v100 offset0:24 offset1:26
	v_mul_f32_e32 v123, v109, v32
	v_mul_f32_e32 v32, v108, v32
	v_fmac_f32_e32 v115, v126, v19
	v_fma_f32 v126, v127, v19, -v20
	s_waitcnt vmcnt(7) lgkmcnt(4)
	v_mul_f32_e32 v127, v131, v34
	v_mul_f32_e32 v34, v130, v34
	v_fmac_f32_e32 v147, v112, v17
	v_fma_f32 v112, v113, v17, -v18
	v_mul_f32_e32 v113, v125, v36
	v_mul_f32_e32 v36, v124, v36
	v_fmac_f32_e32 v123, v108, v31
	v_fma_f32 v146, v109, v31, -v32
	ds_read2st64_b64 v[29:32], v100 offset0:12 offset1:14
	ds_read2st64_b64 v[17:20], v100 offset0:20 offset1:22
	v_fmac_f32_e32 v127, v130, v33
	v_fma_f32 v130, v131, v33, -v34
	s_waitcnt vmcnt(6) lgkmcnt(5)
	v_mul_f32_e32 v131, v135, v28
	v_mul_f32_e32 v28, v134, v28
	v_fmac_f32_e32 v113, v124, v35
	v_fma_f32 v124, v125, v35, -v36
	ds_read2st64_b64 v[33:36], v100 offset0:8 offset1:10
	v_mul_f32_e32 v125, v129, v26
	v_mul_f32_e32 v26, v128, v26
	v_fmac_f32_e32 v131, v134, v27
	v_fma_f32 v134, v135, v27, -v28
	s_waitcnt vmcnt(5) lgkmcnt(5)
	v_mul_f32_e32 v135, v139, v38
	v_mul_f32_e32 v38, v138, v38
	v_fmac_f32_e32 v125, v128, v25
	v_fma_f32 v128, v129, v25, -v26
	v_mul_f32_e32 v129, v133, v40
	v_mul_f32_e32 v40, v132, v40
	ds_read2st64_b64 v[25:28], v100 offset1:2
	v_fmac_f32_e32 v135, v138, v37
	v_fma_f32 v37, v139, v37, -v38
	s_waitcnt vmcnt(4)
	v_mul_f32_e32 v38, v137, v24
	v_mul_f32_e32 v24, v136, v24
	v_fmac_f32_e32 v129, v132, v39
	v_fma_f32 v39, v133, v39, -v40
	ds_read2st64_b64 v[108:111], v100 offset0:4 offset1:6
	v_fmac_f32_e32 v38, v136, v23
	v_fma_f32 v23, v137, v23, -v24
	s_waitcnt vmcnt(3) lgkmcnt(6)
	v_mul_f32_e32 v24, v96, v14
	v_mul_f32_e32 v14, v95, v14
	s_waitcnt lgkmcnt(5)
	v_mul_f32_e32 v40, v94, v16
	v_mul_f32_e32 v16, v93, v16
	;; [unrolled: 1-line block ×4, first 2 shown]
	v_fmac_f32_e32 v24, v95, v13
	v_fma_f32 v95, v96, v13, -v14
	s_waitcnt vmcnt(1) lgkmcnt(4)
	v_mul_f32_e32 v96, v30, v6
	v_mul_f32_e32 v6, v29, v6
	s_waitcnt lgkmcnt(3)
	v_mul_f32_e32 v13, v20, v8
	v_mul_f32_e32 v8, v19, v8
	v_fmac_f32_e32 v40, v93, v15
	v_fma_f32 v14, v94, v15, -v16
	s_waitcnt vmcnt(0)
	v_mul_f32_e32 v15, v18, v4
	v_mul_f32_e32 v4, v17, v4
	s_waitcnt lgkmcnt(2)
	v_mul_f32_e32 v93, v2, v36
	v_mul_f32_e32 v2, v2, v35
	v_fmac_f32_e32 v132, v97, v21
	v_fma_f32 v133, v98, v21, -v22
	v_mul_f32_e32 v21, v92, v12
	v_mul_f32_e32 v12, v91, v12
	;; [unrolled: 1-line block ×4, first 2 shown]
	v_fmac_f32_e32 v96, v29, v5
	v_fma_f32 v29, v30, v5, -v6
	v_fmac_f32_e32 v15, v17, v3
	v_fma_f32 v5, v20, v7, -v8
	v_fma_f32 v3, v18, v3, -v4
	;; [unrolled: 1-line block ×3, first 2 shown]
	v_fmac_f32_e32 v93, v1, v35
	v_fmac_f32_e32 v21, v91, v11
	v_fma_f32 v11, v92, v11, -v12
	v_fmac_f32_e32 v22, v31, v9
	v_fma_f32 v31, v32, v9, -v10
	v_fmac_f32_e32 v13, v19, v7
	s_waitcnt lgkmcnt(1)
	v_add_f32_e32 v1, v25, v15
	v_add_f32_e32 v2, v15, v129
	v_sub_f32_e32 v18, v15, v129
	v_add_f32_e32 v4, v26, v3
	v_add_f32_e32 v6, v37, v90
	;; [unrolled: 1-line block ×6, first 2 shown]
	v_sub_f32_e32 v91, v128, v99
	v_add_f32_e32 v128, v147, v116
	v_add_f32_e32 v7, v17, v37
	;; [unrolled: 1-line block ×5, first 2 shown]
	v_sub_f32_e32 v19, v3, v39
	v_add_f32_e32 v3, v3, v39
	v_sub_f32_e32 v20, v135, v120
	v_sub_f32_e32 v30, v37, v90
	v_add_f32_e32 v12, v28, v5
	v_add_f32_e32 v35, v96, v125
	v_sub_f32_e32 v36, v125, v144
	v_sub_f32_e32 v37, v13, v131
	v_add_f32_e32 v92, v13, v131
	v_add_f32_e32 v13, v27, v13
	;; [unrolled: 1-line block ×3, first 2 shown]
	s_waitcnt lgkmcnt(0)
	v_add_f32_e32 v97, v111, v14
	v_add_f32_e32 v125, v95, v112
	;; [unrolled: 1-line block ×7, first 2 shown]
	v_fmac_f32_e32 v17, -0.5, v6
	v_add_f32_e32 v6, v108, v21
	v_fmac_f32_e32 v28, -0.5, v10
	v_fmac_f32_e32 v29, -0.5, v15
	v_add_f32_e32 v10, v130, v118
	v_fmac_f32_e32 v96, -0.5, v32
	v_sub_f32_e32 v32, v14, v126
	v_add_f32_e32 v14, v34, v23
	v_fmac_f32_e32 v24, -0.5, v128
	v_add_f32_e32 v15, v23, v146
	v_sub_f32_e32 v128, v23, v146
	v_add_f32_e32 v23, v114, v122
	v_sub_f32_e32 v137, v40, v115
	v_add_f32_e32 v138, v110, v40
	v_add_f32_e32 v40, v40, v115
	;; [unrolled: 1-line block ×4, first 2 shown]
	v_sub_f32_e32 v136, v147, v116
	v_add_f32_e32 v8, v8, v120
	v_add_f32_e32 v120, v109, v11
	v_fmac_f32_e32 v93, -0.5, v9
	v_add_f32_e32 v9, v22, v127
	v_sub_f32_e32 v147, v11, v124
	v_add_f32_e32 v11, v33, v38
	v_add_f32_e32 v148, v38, v123
	v_sub_f32_e32 v149, v38, v123
	v_fmac_f32_e32 v95, -0.5, v98
	v_add_f32_e32 v38, v132, v121
	v_sub_f32_e32 v139, v5, v134
	v_add_f32_e32 v5, v127, v145
	v_sub_f32_e32 v127, v127, v145
	v_sub_f32_e32 v21, v21, v113
	v_add_f32_e32 v13, v13, v131
	v_add_f32_e32 v131, v133, v114
	;; [unrolled: 1-line block ×4, first 2 shown]
	v_fma_f32 v98, -0.5, v3, v26
	v_fma_f32 v99, -0.5, v1, v108
	;; [unrolled: 1-line block ×3, first 2 shown]
	v_add_f32_e32 v26, v6, v113
	v_add_f32_e32 v113, v125, v117
	;; [unrolled: 1-line block ×3, first 2 shown]
	v_fmac_f32_e32 v31, -0.5, v10
	v_fmac_f32_e32 v133, -0.5, v23
	v_fmamk_f32 v23, v20, 0x3f5db3d7, v17
	v_add_f32_e32 v35, v35, v144
	v_fma_f32 v109, -0.5, v40, v110
	v_add_f32_e32 v40, v90, v118
	v_add_f32_e32 v90, v138, v115
	;; [unrolled: 1-line block ×3, first 2 shown]
	v_fmac_f32_e32 v17, 0xbf5db3d7, v20
	v_sub_f32_e32 v112, v112, v117
	v_fmac_f32_e32 v111, -0.5, v94
	v_add_f32_e32 v94, v121, v119
	v_sub_f32_e32 v121, v121, v119
	v_fma_f32 v92, -0.5, v92, v27
	v_add_f32_e32 v27, v120, v124
	v_add_f32_e32 v39, v9, v145
	;; [unrolled: 1-line block ×3, first 2 shown]
	v_fmamk_f32 v119, v36, 0x3f5db3d7, v29
	v_fmac_f32_e32 v29, 0xbf5db3d7, v36
	v_fmamk_f32 v120, v37, 0x3f5db3d7, v28
	v_fmac_f32_e32 v28, 0xbf5db3d7, v37
	;; [unrolled: 2-line block ×3, first 2 shown]
	v_sub_f32_e32 v130, v130, v118
	v_fma_f32 v25, -0.5, v2, v25
	v_fmac_f32_e32 v22, -0.5, v5
	v_add_f32_e32 v116, v14, v146
	v_fmamk_f32 v38, v30, 0xbf5db3d7, v93
	v_add_f32_e32 v1, v129, v8
	v_fmamk_f32 v118, v18, 0x3f5db3d7, v98
	v_sub_f32_e32 v3, v129, v8
	v_add_f32_e32 v6, v12, v16
	v_sub_f32_e32 v8, v12, v16
	v_add_f32_e32 v14, v97, v113
	v_sub_f32_e32 v16, v97, v113
	v_fmac_f32_e32 v98, 0xbf5db3d7, v18
	v_fmamk_f32 v18, v127, 0x3f5db3d7, v31
	v_fmamk_f32 v97, v21, 0x3f5db3d7, v108
	v_fmac_f32_e32 v31, 0xbf5db3d7, v127
	v_fmac_f32_e32 v108, 0xbf5db3d7, v21
	v_mul_f32_e32 v21, 0xbf5db3d7, v23
	v_mul_f32_e32 v23, 0.5, v23
	v_fmac_f32_e32 v34, -0.5, v15
	v_add_f32_e32 v2, v4, v7
	v_sub_f32_e32 v4, v4, v7
	v_add_f32_e32 v5, v13, v35
	v_sub_f32_e32 v7, v13, v35
	;; [unrolled: 2-line block ×3, first 2 shown]
	v_fmac_f32_e32 v93, 0x3f5db3d7, v30
	v_fmamk_f32 v110, v32, 0xbf5db3d7, v109
	v_fmac_f32_e32 v109, 0x3f5db3d7, v32
	v_mul_f32_e32 v32, 0xbf5db3d7, v17
	v_mul_f32_e32 v35, -0.5, v17
	v_add_f32_e32 v115, v11, v123
	v_fmamk_f32 v36, v91, 0xbf5db3d7, v96
	v_fmac_f32_e32 v96, 0x3f5db3d7, v91
	v_fmamk_f32 v91, v112, 0xbf5db3d7, v24
	v_fmac_f32_e32 v24, 0x3f5db3d7, v112
	v_add_f32_e32 v9, v26, v39
	v_add_f32_e32 v10, v27, v40
	v_sub_f32_e32 v11, v26, v39
	v_sub_f32_e32 v12, v27, v40
	v_mul_f32_e32 v26, -0.5, v29
	v_mul_f32_e32 v27, -0.5, v95
	v_mul_f32_e32 v112, 0xbf5db3d7, v119
	v_mul_f32_e32 v113, 0.5, v119
	v_mul_f32_e32 v40, 0xbf5db3d7, v29
	v_fmac_f32_e32 v132, -0.5, v94
	v_fmamk_f32 v94, v19, 0xbf5db3d7, v25
	v_fmac_f32_e32 v25, 0x3f5db3d7, v19
	v_fmamk_f32 v19, v130, 0xbf5db3d7, v22
	v_fmac_f32_e32 v22, 0x3f5db3d7, v130
	v_mul_f32_e32 v119, 0xbf5db3d7, v18
	v_mul_f32_e32 v124, 0.5, v18
	v_mul_f32_e32 v125, 0xbf5db3d7, v31
	v_mul_f32_e32 v126, -0.5, v31
	v_mul_f32_e32 v127, 0xbf5db3d7, v95
	v_mul_f32_e32 v129, 0xbf5db3d7, v37
	v_mul_f32_e32 v130, 0.5, v37
	v_fmac_f32_e32 v21, 0.5, v38
	v_fmac_f32_e32 v23, 0x3f5db3d7, v38
	v_fmac_f32_e32 v32, -0.5, v93
	v_fmac_f32_e32 v35, 0x3f5db3d7, v93
	v_fmamk_f32 v123, v137, 0x3f5db3d7, v111
	v_fmac_f32_e32 v111, 0xbf5db3d7, v137
	v_fmamk_f32 v20, v121, 0x3f5db3d7, v133
	v_fmac_f32_e32 v26, 0x3f5db3d7, v96
	v_fmac_f32_e32 v27, 0x3f5db3d7, v24
	v_fmamk_f32 v39, v139, 0xbf5db3d7, v92
	v_fmac_f32_e32 v112, 0.5, v36
	v_fmac_f32_e32 v113, 0x3f5db3d7, v36
	v_fmac_f32_e32 v92, 0x3f5db3d7, v139
	v_fmac_f32_e32 v40, -0.5, v96
	v_sub_f32_e32 v114, v114, v122
	v_fmamk_f32 v90, v147, 0xbf5db3d7, v99
	v_fmac_f32_e32 v99, 0x3f5db3d7, v147
	v_fmac_f32_e32 v119, 0.5, v19
	v_fmac_f32_e32 v124, 0x3f5db3d7, v19
	v_fmac_f32_e32 v125, -0.5, v22
	v_fmac_f32_e32 v126, 0x3f5db3d7, v22
	v_fmac_f32_e32 v127, -0.5, v24
	v_fmac_f32_e32 v129, 0.5, v91
	v_fmac_f32_e32 v130, 0x3f5db3d7, v91
	v_add_f32_e32 v17, v94, v21
	v_add_f32_e32 v18, v118, v23
	;; [unrolled: 1-line block ×4, first 2 shown]
	v_mul_f32_e32 v134, 0xbf5db3d7, v20
	v_mul_f32_e32 v135, 0.5, v20
	v_add_f32_e32 v20, v28, v26
	v_sub_f32_e32 v22, v28, v26
	v_add_f32_e32 v24, v111, v27
	v_sub_f32_e32 v26, v111, v27
	v_sub_f32_e32 v27, v94, v21
	;; [unrolled: 1-line block ×5, first 2 shown]
	v_add_f32_e32 v35, v39, v112
	v_add_f32_e32 v36, v120, v113
	;; [unrolled: 1-line block ×3, first 2 shown]
	s_barrier
	buffer_gl0_inv
	v_sub_f32_e32 v21, v92, v40
	v_sub_f32_e32 v37, v39, v112
	;; [unrolled: 1-line block ×3, first 2 shown]
	v_add_f32_e32 v39, v90, v119
	v_add_f32_e32 v40, v97, v124
	v_sub_f32_e32 v90, v90, v119
	v_sub_f32_e32 v91, v97, v124
	v_add_f32_e32 v92, v99, v125
	v_add_f32_e32 v93, v108, v126
	v_sub_f32_e32 v94, v99, v125
	v_sub_f32_e32 v95, v108, v126
	v_add_f32_e32 v23, v109, v127
	v_sub_f32_e32 v25, v109, v127
	v_add_f32_e32 v96, v110, v129
	v_add_f32_e32 v97, v123, v130
	v_sub_f32_e32 v98, v110, v129
	v_sub_f32_e32 v99, v123, v130
	ds_write2_b64 v140, v[1:2], v[17:18] offset1:10
	ds_write2_b64 v140, v[29:30], v[3:4] offset0:20 offset1:30
	ds_write2_b64 v140, v[27:28], v[31:32] offset0:40 offset1:50
	ds_write2_b64 v143, v[5:6], v[35:36] offset1:10
	ds_write2_b64 v143, v[19:20], v[7:8] offset0:20 offset1:30
	ds_write2_b64 v143, v[37:38], v[21:22] offset0:40 offset1:50
	;; [unrolled: 3-line block ×4, first 2 shown]
	v_fmamk_f32 v1, v114, 0xbf5db3d7, v132
	v_mul_u32_u24_e32 v2, 0x1e0, v106
	v_lshlrev_b32_sdwa v3, v103, v107 dst_sel:DWORD dst_unused:UNUSED_PAD src0_sel:DWORD src1_sel:WORD_0
	v_fma_f32 v11, -0.5, v148, v33
	v_fmac_f32_e32 v133, 0xbf5db3d7, v121
	v_add_f32_e32 v8, v131, v122
	v_fmac_f32_e32 v134, 0.5, v1
	v_fmac_f32_e32 v135, 0x3f5db3d7, v1
	v_add3_u32 v17, 0, v2, v3
	v_fmamk_f32 v12, v128, 0xbf5db3d7, v11
	v_fmamk_f32 v16, v149, 0x3f5db3d7, v34
	v_fmac_f32_e32 v132, 0x3f5db3d7, v114
	v_mul_f32_e32 v2, 0xbf5db3d7, v133
	v_mul_f32_e32 v13, -0.5, v133
	v_add_f32_e32 v3, v115, v117
	v_add_f32_e32 v4, v116, v8
	;; [unrolled: 1-line block ×4, first 2 shown]
	v_fmac_f32_e32 v11, 0x3f5db3d7, v128
	v_mul_lo_u16 v1, 0x89, v105
	v_fmac_f32_e32 v2, -0.5, v132
	v_fmac_f32_e32 v34, 0xbf5db3d7, v149
	v_fmac_f32_e32 v13, 0x3f5db3d7, v132
	v_mov_b32_e32 v35, 0x8889
	v_sub_f32_e32 v7, v115, v117
	v_sub_f32_e32 v8, v116, v8
	v_lshrrev_b16 v99, 13, v1
	v_add_f32_e32 v9, v11, v2
	v_add_f32_e32 v10, v34, v13
	ds_write2_b64 v17, v[3:4], v[5:6] offset1:10
	v_mul_u32_u24_sdwa v6, v83, v35 dst_sel:DWORD dst_unused:UNUSED_PAD src0_sel:WORD_0 src1_sel:DWORD
	v_sub_f32_e32 v14, v34, v13
	v_sub_f32_e32 v13, v11, v2
	;; [unrolled: 1-line block ×4, first 2 shown]
	v_mul_lo_u16 v1, 0x89, v104
	v_mul_lo_u16 v18, v99, 60
	ds_write2_b64 v17, v[9:10], v[7:8] offset0:20 offset1:30
	ds_write2_b64 v17, v[15:16], v[13:14] offset0:40 offset1:50
	v_lshrrev_b32_e32 v13, 21, v6
	v_lshrrev_b16 v2, 13, v1
	v_sub_nc_u16 v11, v45, v18
	v_mul_u32_u24_sdwa v12, v89, v35 dst_sel:DWORD dst_unused:UNUSED_PAD src0_sel:WORD_0 src1_sel:DWORD
	v_mul_u32_u24_sdwa v5, v66, v35 dst_sel:DWORD dst_unused:UNUSED_PAD src0_sel:WORD_0 src1_sel:DWORD
	;; [unrolled: 1-line block ×3, first 2 shown]
	v_mul_lo_u16 v18, v13, 60
	v_mul_u32_u24_e32 v36, 0x445, v86
	v_mul_lo_u16 v3, v2, 60
	v_lshlrev_b32_sdwa v112, v103, v11 dst_sel:DWORD dst_unused:UNUSED_PAD src0_sel:DWORD src1_sel:BYTE_0
	v_lshrrev_b32_e32 v10, 21, v12
	v_lshrrev_b32_e32 v11, 21, v5
	;; [unrolled: 1-line block ×3, first 2 shown]
	v_sub_nc_u16 v19, v83, v18
	v_lshrrev_b32_e32 v18, 16, v36
	v_sub_nc_u16 v3, v102, v3
	v_mul_lo_u16 v4, v10, 60
	v_mul_lo_u16 v7, v11, 60
	v_mul_lo_u16 v22, v14, 60
	v_mul_lo_u16 v23, v18, 60
	v_lshlrev_b32_sdwa v9, v103, v3 dst_sel:DWORD dst_unused:UNUSED_PAD src0_sel:DWORD src1_sel:BYTE_0
	v_sub_nc_u16 v3, v89, v4
	v_sub_nc_u16 v4, v66, v7
	v_mul_u32_u24_sdwa v7, v84, v35 dst_sel:DWORD dst_unused:UNUSED_PAD src0_sel:WORD_0 src1_sel:DWORD
	v_sub_nc_u16 v24, v85, v22
	v_sub_nc_u16 v25, v86, v23
	v_mul_u32_u24_sdwa v39, v75, v35 dst_sel:DWORD dst_unused:UNUSED_PAD src0_sel:WORD_0 src1_sel:DWORD
	v_mul_u32_u24_sdwa v90, v77, v35 dst_sel:DWORD dst_unused:UNUSED_PAD src0_sel:WORD_0 src1_sel:DWORD
	v_lshrrev_b32_e32 v15, 21, v7
	v_lshlrev_b32_sdwa v23, v103, v24 dst_sel:DWORD dst_unused:UNUSED_PAD src0_sel:DWORD src1_sel:WORD_0
	v_lshlrev_b32_sdwa v24, v103, v25 dst_sel:DWORD dst_unused:UNUSED_PAD src0_sel:DWORD src1_sel:WORD_0
	v_lshrrev_b32_e32 v25, 21, v39
	v_mul_u32_u24_sdwa v91, v78, v35 dst_sel:DWORD dst_unused:UNUSED_PAD src0_sel:WORD_0 src1_sel:DWORD
	v_mul_lo_u16 v21, v15, 60
	v_lshlrev_b32_sdwa v17, v103, v3 dst_sel:DWORD dst_unused:UNUSED_PAD src0_sel:DWORD src1_sel:WORD_0
	v_lshlrev_b32_sdwa v16, v103, v4 dst_sel:DWORD dst_unused:UNUSED_PAD src0_sel:DWORD src1_sel:WORD_0
	v_mul_lo_u16 v29, v25, 60
	v_mul_u32_u24_sdwa v37, v73, v35 dst_sel:DWORD dst_unused:UNUSED_PAD src0_sel:WORD_0 src1_sel:DWORD
	v_sub_nc_u16 v21, v84, v21
	v_mul_u32_u24_sdwa v38, v74, v35 dst_sel:DWORD dst_unused:UNUSED_PAD src0_sel:WORD_0 src1_sel:DWORD
	v_lshrrev_b32_e32 v33, 21, v90
	v_sub_nc_u16 v29, v75, v29
	v_lshrrev_b32_e32 v30, 21, v91
	s_waitcnt lgkmcnt(0)
	s_barrier
	buffer_gl0_inv
	s_clause 0x3
	global_load_dwordx2 v[3:4], v112, s[12:13] offset:400
	global_load_dwordx2 v[97:98], v9, s[12:13] offset:400
	;; [unrolled: 1-line block ×4, first 2 shown]
	v_lshlrev_b32_sdwa v20, v103, v19 dst_sel:DWORD dst_unused:UNUSED_PAD src0_sel:DWORD src1_sel:WORD_0
	v_lshrrev_b32_e32 v19, 21, v37
	v_lshlrev_b32_sdwa v22, v103, v21 dst_sel:DWORD dst_unused:UNUSED_PAD src0_sel:DWORD src1_sel:WORD_0
	v_lshrrev_b32_e32 v21, 21, v38
	v_lshlrev_b32_sdwa v34, v103, v29 dst_sel:DWORD dst_unused:UNUSED_PAD src0_sel:DWORD src1_sel:WORD_0
	v_mul_lo_u16 v29, v33, 60
	v_mul_lo_u16 v32, v30, 60
	;; [unrolled: 1-line block ×3, first 2 shown]
	global_load_dwordx2 v[120:121], v20, s[12:13] offset:400
	v_mul_lo_u16 v27, v21, 60
	v_sub_nc_u16 v29, v77, v29
	v_sub_nc_u16 v92, v78, v32
	s_clause 0x2
	global_load_dwordx2 v[122:123], v22, s[12:13] offset:400
	global_load_dwordx2 v[124:125], v23, s[12:13] offset:400
	;; [unrolled: 1-line block ×3, first 2 shown]
	v_sub_nc_u16 v26, v73, v26
	v_mul_u32_u24_sdwa v40, v76, v35 dst_sel:DWORD dst_unused:UNUSED_PAD src0_sel:WORD_0 src1_sel:DWORD
	v_sub_nc_u16 v28, v74, v27
	v_lshlrev_b32_sdwa v32, v103, v29 dst_sel:DWORD dst_unused:UNUSED_PAD src0_sel:DWORD src1_sel:WORD_0
	v_lshlrev_b32_sdwa v29, v103, v92 dst_sel:DWORD dst_unused:UNUSED_PAD src0_sel:DWORD src1_sel:WORD_0
	v_mul_u32_u24_sdwa v92, v79, v35 dst_sel:DWORD dst_unused:UNUSED_PAD src0_sel:WORD_0 src1_sel:DWORD
	v_lshlrev_b32_sdwa v26, v103, v26 dst_sel:DWORD dst_unused:UNUSED_PAD src0_sel:DWORD src1_sel:WORD_0
	v_lshrrev_b32_e32 v27, 21, v40
	v_lshlrev_b32_sdwa v28, v103, v28 dst_sel:DWORD dst_unused:UNUSED_PAD src0_sel:DWORD src1_sel:WORD_0
	global_load_dwordx2 v[132:133], v34, s[12:13] offset:400
	v_lshrrev_b32_e32 v156, 21, v92
	global_load_dwordx2 v[128:129], v26, s[12:13] offset:400
	v_mul_lo_u16 v31, v27, 60
	s_clause 0x1
	global_load_dwordx2 v[130:131], v28, s[12:13] offset:400
	global_load_dwordx2 v[138:139], v29, s[12:13] offset:400
	v_mul_lo_u16 v35, v156, 60
	v_mul_u32_u24_sdwa v99, v99, v157 dst_sel:DWORD dst_unused:UNUSED_PAD src0_sel:WORD_0 src1_sel:DWORD
	v_sub_nc_u16 v31, v76, v31
	v_mul_u32_u24_e32 v10, 0x3c0, v10
	v_mul_u32_u24_sdwa v2, v2, v157 dst_sel:DWORD dst_unused:UNUSED_PAD src0_sel:WORD_0 src1_sel:DWORD
	v_sub_nc_u16 v35, v79, v35
	v_add3_u32 v99, 0, v99, v112
	v_lshlrev_b32_sdwa v31, v103, v31 dst_sel:DWORD dst_unused:UNUSED_PAD src0_sel:DWORD src1_sel:WORD_0
	v_add3_u32 v17, 0, v10, v17
	v_mul_u32_u24_e32 v10, 0x3c0, v11
	v_lshlrev_b32_sdwa v35, v103, v35 dst_sel:DWORD dst_unused:UNUSED_PAD src0_sel:DWORD src1_sel:WORD_0
	v_lshrrev_b16 v11, 14, v1
	global_load_dwordx2 v[134:135], v31, s[12:13] offset:400
	v_add3_u32 v2, 0, v2, v9
	v_add3_u32 v16, 0, v10, v16
	s_clause 0x1
	global_load_dwordx2 v[140:141], v35, s[12:13] offset:400
	global_load_dwordx2 v[136:137], v32, s[12:13] offset:400
	ds_read2st64_b64 v[93:96], v100 offset0:30 offset1:32
	ds_read2st64_b64 v[104:107], v100 offset0:34 offset1:36
	ds_read2st64_b64 v[108:111], v100 offset0:38 offset1:40
	ds_read2st64_b64 v[112:115], v100 offset0:42 offset1:44
	v_mul_u32_u24_e32 v10, 0x3c0, v13
	v_mul_u32_u24_e32 v13, 0x3c0, v27
	;; [unrolled: 1-line block ×3, first 2 shown]
	v_add3_u32 v20, 0, v10, v20
	v_mul_u32_u24_e32 v10, 0x3c0, v15
	v_add3_u32 v27, 0, v27, v35
	v_lshrrev_b32_e32 v35, 22, v92
	v_add3_u32 v15, 0, v10, v22
	v_mul_u32_u24_e32 v10, 0x3c0, v14
	v_mul_u32_u24_e32 v14, 0x3c0, v33
	v_add3_u32 v22, 0, v10, v23
	v_mul_u32_u24_e32 v10, 0x3c0, v18
	v_mul_u32_u24_e32 v23, 0x3c0, v30
	v_add3_u32 v18, 0, v10, v24
	v_mul_u32_u24_e32 v10, 0x3c0, v19
	v_add3_u32 v24, 0, v13, v31
	v_add3_u32 v23, 0, v23, v29
	v_lshrrev_b32_e32 v13, 22, v7
	v_add3_u32 v19, 0, v10, v26
	v_mul_u32_u24_e32 v10, 0x3c0, v21
	v_add3_u32 v26, 0, v14, v32
	v_add3_u32 v21, 0, v10, v28
	v_lshrrev_b32_e32 v10, 22, v5
	v_mul_lo_u16 v14, 0x78, v10
	v_mul_u32_u24_e32 v10, 0x780, v10
	v_sub_nc_u16 v29, v66, v14
	s_waitcnt vmcnt(14) lgkmcnt(3)
	v_mul_f32_e32 v142, v4, v94
	v_mul_f32_e32 v4, v4, v93
	s_waitcnt vmcnt(13)
	v_mul_f32_e32 v143, v98, v96
	v_mul_f32_e32 v98, v98, v95
	s_waitcnt vmcnt(12) lgkmcnt(2)
	v_mul_f32_e32 v145, v105, v117
	v_fmac_f32_e32 v142, v3, v93
	v_fma_f32 v144, v3, v94, -v4
	v_mul_f32_e32 v3, v104, v117
	v_fmac_f32_e32 v143, v97, v95
	v_fma_f32 v146, v97, v96, -v98
	ds_read2st64_b64 v[93:96], v100 offset0:46 offset1:48
	s_waitcnt vmcnt(11)
	v_mul_f32_e32 v4, v106, v119
	v_mul_f32_e32 v147, v107, v119
	v_fma_f32 v148, v105, v116, -v3
	s_waitcnt vmcnt(10) lgkmcnt(2)
	v_mul_f32_e32 v3, v108, v121
	v_fmac_f32_e32 v145, v104, v116
	v_fma_f32 v150, v107, v118, -v4
	s_waitcnt vmcnt(9)
	v_mul_f32_e32 v4, v110, v123
	v_mul_f32_e32 v149, v109, v121
	v_fmac_f32_e32 v147, v106, v118
	ds_read2st64_b64 v[104:107], v100 offset0:50 offset1:52
	v_mul_f32_e32 v151, v111, v123
	v_fma_f32 v152, v109, v120, -v3
	s_waitcnt vmcnt(8) lgkmcnt(2)
	v_mul_f32_e32 v153, v113, v125
	v_mul_f32_e32 v3, v112, v125
	v_fma_f32 v154, v111, v122, -v4
	s_waitcnt vmcnt(7)
	v_mul_f32_e32 v155, v115, v127
	v_mul_f32_e32 v4, v114, v127
	v_fmac_f32_e32 v149, v108, v120
	v_fmac_f32_e32 v151, v110, v122
	ds_read2st64_b64 v[108:111], v100 offset0:54 offset1:56
	v_fmac_f32_e32 v153, v112, v124
	v_fma_f32 v158, v113, v124, -v3
	v_fmac_f32_e32 v155, v114, v126
	v_fma_f32 v160, v115, v126, -v4
	ds_read2st64_b64 v[112:115], v100 offset1:2
	s_waitcnt vmcnt(5) lgkmcnt(3)
	v_mul_f32_e32 v3, v93, v129
	s_waitcnt vmcnt(4)
	v_mul_f32_e32 v4, v95, v131
	v_mul_f32_e32 v159, v94, v129
	;; [unrolled: 1-line block ×3, first 2 shown]
	s_waitcnt lgkmcnt(2)
	v_mul_f32_e32 v163, v105, v133
	v_fma_f32 v162, v94, v128, -v3
	v_fma_f32 v164, v96, v130, -v4
	ds_read_b64 v[97:98], v80
	ds_read_b64 v[3:4], v100 offset:29696
	v_fmac_f32_e32 v159, v93, v128
	v_mul_f32_e32 v93, v104, v133
	s_waitcnt vmcnt(2)
	v_mul_f32_e32 v165, v107, v135
	v_mul_f32_e32 v94, v106, v135
	v_fmac_f32_e32 v163, v104, v132
	v_fmac_f32_e32 v161, v95, v130
	v_fma_f32 v166, v105, v132, -v93
	s_waitcnt vmcnt(0) lgkmcnt(3)
	v_mul_f32_e32 v167, v109, v137
	v_mul_f32_e32 v104, v108, v137
	;; [unrolled: 1-line block ×4, first 2 shown]
	s_waitcnt lgkmcnt(2)
	v_sub_f32_e32 v128, v112, v142
	v_sub_f32_e32 v129, v113, v144
	v_fmac_f32_e32 v165, v106, v134
	v_fma_f32 v168, v107, v134, -v94
	ds_read2st64_b64 v[93:96], v100 offset0:4 offset1:6
	v_fmac_f32_e32 v167, v108, v136
	v_fma_f32 v170, v109, v136, -v104
	v_fmac_f32_e32 v169, v110, v138
	v_fma_f32 v171, v111, v138, -v105
	ds_read2st64_b64 v[104:107], v100 offset0:8 offset1:10
	v_fma_f32 v112, v112, 2.0, -v128
	v_fma_f32 v113, v113, 2.0, -v129
	ds_read2st64_b64 v[108:111], v100 offset0:12 offset1:16
	ds_read2st64_b64 v[116:119], v100 offset0:18 offset1:20
	;; [unrolled: 1-line block ×4, first 2 shown]
	s_waitcnt lgkmcnt(0)
	s_barrier
	buffer_gl0_inv
	ds_write2_b64 v99, v[112:113], v[128:129] offset1:60
	v_mul_f32_e32 v99, v4, v141
	v_sub_f32_e32 v112, v114, v143
	v_sub_f32_e32 v113, v115, v146
	v_fmac_f32_e32 v99, v3, v140
	v_mul_f32_e32 v3, v3, v141
	v_sub_f32_e32 v128, v93, v145
	v_sub_f32_e32 v129, v94, v148
	;; [unrolled: 1-line block ×4, first 2 shown]
	v_fma_f32 v3, v4, v140, -v3
	v_sub_f32_e32 v134, v106, v151
	v_mov_b32_e32 v4, v46
	v_sub_f32_e32 v133, v105, v152
	v_sub_f32_e32 v136, v108, v153
	;; [unrolled: 1-line block ×3, first 2 shown]
	v_add_nc_u32_e32 v3, 0xffffff88, v45
	v_sub_f32_e32 v132, v104, v149
	v_sub_f32_e32 v135, v107, v154
	v_fma_f32 v114, v114, 2.0, -v112
	v_fma_f32 v115, v115, 2.0, -v113
	v_cndmask_b32_e64 v3, v3, v45, s0
	v_sub_f32_e32 v137, v109, v158
	v_sub_f32_e32 v138, v110, v159
	;; [unrolled: 1-line block ×4, first 2 shown]
	v_lshlrev_b64 v[152:153], 3, v[3:4]
	v_lshrrev_b32_e32 v4, 22, v12
	v_sub_f32_e32 v141, v117, v164
	v_sub_f32_e32 v142, v118, v163
	;; [unrolled: 1-line block ×4, first 2 shown]
	v_mul_lo_u16 v12, 0x78, v4
	v_sub_f32_e32 v145, v121, v168
	v_sub_f32_e32 v146, v122, v167
	;; [unrolled: 1-line block ×6, first 2 shown]
	v_sub_nc_u16 v89, v89, v12
	v_sub_f32_e32 v154, v97, v155
	v_sub_f32_e32 v155, v98, v160
	v_mul_u32_u24_e32 v12, 0x3c0, v25
	v_mul_lo_u16 v25, 0x78, v11
	v_fma_f32 v93, v93, 2.0, -v128
	v_fma_f32 v94, v94, 2.0, -v129
	;; [unrolled: 1-line block ×26, first 2 shown]
	v_add3_u32 v1, 0, v12, v34
	v_sub_nc_u16 v25, v102, v25
	ds_write2_b64 v2, v[114:115], v[112:113] offset1:60
	ds_write2_b64 v17, v[93:94], v[128:129] offset1:60
	ds_write2_b64 v16, v[95:96], v[130:131] offset1:60
	ds_write2_b64 v20, v[104:105], v[132:133] offset1:60
	ds_write2_b64 v15, v[106:107], v[134:135] offset1:60
	ds_write2_b64 v22, v[108:109], v[136:137] offset1:60
	ds_write2_b64 v18, v[97:98], v[154:155] offset1:60
	ds_write2_b64 v19, v[110:111], v[138:139] offset1:60
	ds_write2_b64 v21, v[116:117], v[140:141] offset1:60
	ds_write2_b64 v1, v[118:119], v[142:143] offset1:60
	ds_write2_b64 v24, v[120:121], v[144:145] offset1:60
	ds_write2_b64 v26, v[122:123], v[146:147] offset1:60
	ds_write2_b64 v23, v[124:125], v[148:149] offset1:60
	ds_write2_b64 v27, v[126:127], v[150:151] offset1:60
	v_lshrrev_b32_e32 v19, 22, v8
	v_add_co_u32 v152, s0, s12, v152
	v_add_co_ci_u32_e64 v153, s0, s13, v153, s0
	v_lshrrev_b32_e32 v12, 22, v6
	v_lshlrev_b32_sdwa v9, v103, v25 dst_sel:DWORD dst_unused:UNUSED_PAD src0_sel:DWORD src1_sel:BYTE_0
	v_mul_lo_u16 v23, 0x78, v19
	v_lshrrev_b32_e32 v22, 22, v37
	v_lshrrev_b32_e32 v16, 17, v36
	v_mul_lo_u16 v28, 0x78, v12
	s_waitcnt lgkmcnt(0)
	s_barrier
	buffer_gl0_inv
	s_clause 0x1
	global_load_dwordx2 v[1:2], v[152:153], off offset:880
	global_load_dwordx2 v[17:18], v9, s[12:13] offset:880
	v_sub_nc_u16 v25, v85, v23
	v_lshrrev_b32_e32 v23, 22, v38
	v_mul_lo_u16 v26, 0x78, v22
	v_mul_lo_u16 v20, 0x78, v13
	;; [unrolled: 1-line block ×3, first 2 shown]
	v_lshlrev_b32_sdwa v15, v103, v29 dst_sel:DWORD dst_unused:UNUSED_PAD src0_sel:DWORD src1_sel:WORD_0
	v_sub_nc_u16 v21, v83, v28
	v_mul_lo_u16 v28, 0x78, v23
	v_sub_nc_u16 v29, v73, v26
	v_lshrrev_b32_e32 v27, 22, v39
	v_lshrrev_b32_e32 v26, 22, v40
	v_lshlrev_b32_sdwa v14, v103, v89 dst_sel:DWORD dst_unused:UNUSED_PAD src0_sel:DWORD src1_sel:WORD_0
	v_sub_nc_u16 v20, v84, v20
	v_sub_nc_u16 v24, v86, v24
	v_lshlrev_b32_sdwa v21, v103, v21 dst_sel:DWORD dst_unused:UNUSED_PAD src0_sel:DWORD src1_sel:WORD_0
	v_sub_nc_u16 v30, v74, v28
	v_lshlrev_b32_sdwa v28, v103, v29 dst_sel:DWORD dst_unused:UNUSED_PAD src0_sel:DWORD src1_sel:WORD_0
	v_lshrrev_b32_e32 v29, 22, v90
	v_mul_lo_u16 v31, 0x78, v27
	v_mul_lo_u16 v32, 0x78, v26
	s_clause 0x1
	global_load_dwordx2 v[120:121], v14, s[12:13] offset:880
	global_load_dwordx2 v[122:123], v15, s[12:13] offset:880
	v_lshlrev_b32_sdwa v20, v103, v20 dst_sel:DWORD dst_unused:UNUSED_PAD src0_sel:DWORD src1_sel:WORD_0
	v_lshlrev_b32_sdwa v25, v103, v25 dst_sel:DWORD dst_unused:UNUSED_PAD src0_sel:DWORD src1_sel:WORD_0
	;; [unrolled: 1-line block ×3, first 2 shown]
	global_load_dwordx2 v[124:125], v21, s[12:13] offset:880
	v_mul_lo_u16 v33, 0x78, v29
	global_load_dwordx2 v[126:127], v20, s[12:13] offset:880
	v_sub_nc_u16 v34, v75, v31
	v_sub_nc_u16 v32, v76, v32
	s_clause 0x1
	global_load_dwordx2 v[128:129], v25, s[12:13] offset:880
	global_load_dwordx2 v[130:131], v24, s[12:13] offset:880
	v_lshlrev_b32_sdwa v30, v103, v30 dst_sel:DWORD dst_unused:UNUSED_PAD src0_sel:DWORD src1_sel:WORD_0
	global_load_dwordx2 v[132:133], v28, s[12:13] offset:880
	v_sub_nc_u16 v89, v77, v33
	v_lshlrev_b32_sdwa v33, v103, v34 dst_sel:DWORD dst_unused:UNUSED_PAD src0_sel:DWORD src1_sel:WORD_0
	v_lshlrev_b32_sdwa v32, v103, v32 dst_sel:DWORD dst_unused:UNUSED_PAD src0_sel:DWORD src1_sel:WORD_0
	global_load_dwordx2 v[134:135], v30, s[12:13] offset:880
	v_lshrrev_b32_e32 v31, 22, v91
	v_lshlrev_b32_sdwa v34, v103, v89 dst_sel:DWORD dst_unused:UNUSED_PAD src0_sel:DWORD src1_sel:WORD_0
	s_clause 0x1
	global_load_dwordx2 v[136:137], v33, s[12:13] offset:880
	global_load_dwordx2 v[138:139], v32, s[12:13] offset:880
	v_mul_lo_u16 v94, 0x78, v35
	v_mul_lo_u16 v93, 0x78, v31
	global_load_dwordx2 v[140:141], v34, s[12:13] offset:880
	v_lshlrev_b32_e32 v3, 3, v3
	v_mul_u32_u24_e32 v4, 0x780, v4
	v_mul_u32_u24_e32 v12, 0x780, v12
	v_sub_nc_u16 v89, v78, v93
	v_mul_u32_u24_e32 v13, 0x780, v13
	v_add3_u32 v10, 0, v10, v15
	v_add3_u32 v4, 0, v4, v14
	;; [unrolled: 1-line block ×3, first 2 shown]
	v_lshlrev_b32_sdwa v93, v103, v89 dst_sel:DWORD dst_unused:UNUSED_PAD src0_sel:DWORD src1_sel:WORD_0
	v_sub_nc_u16 v89, v79, v94
	v_add3_u32 v13, 0, v13, v20
	v_mul_u32_u24_e32 v14, 0x780, v19
	v_mul_u32_u24_e32 v15, 0x780, v16
	global_load_dwordx2 v[142:143], v93, s[12:13] offset:880
	v_lshlrev_b32_sdwa v94, v103, v89 dst_sel:DWORD dst_unused:UNUSED_PAD src0_sel:DWORD src1_sel:WORD_0
	v_mul_u32_u24_e32 v16, 0x780, v22
	v_mul_u32_u24_e32 v19, 0x780, v27
	v_lshrrev_b32_e32 v20, 23, v8
	v_mul_u32_u24_e32 v8, 0x780, v31
	global_load_dwordx2 v[144:145], v94, s[12:13] offset:880
	ds_read2st64_b64 v[95:98], v100 offset0:30 offset1:32
	ds_read2st64_b64 v[104:107], v100 offset0:34 offset1:36
	;; [unrolled: 1-line block ×5, first 2 shown]
	v_mul_u32_u24_e32 v21, 0x780, v35
	v_add3_u32 v14, 0, v14, v25
	v_add3_u32 v15, 0, v15, v24
	;; [unrolled: 1-line block ×6, first 2 shown]
	v_lshrrev_b32_e32 v24, 23, v39
	v_lshrrev_b32_e32 v25, 23, v90
	;; [unrolled: 1-line block ×3, first 2 shown]
	v_mul_lo_u16 v24, 0xf0, v24
	v_mul_lo_u16 v39, 0x1e0, v39
	v_sub_nc_u16 v28, v75, v24
	v_sub_nc_u16 v39, v75, v39
	s_waitcnt vmcnt(14) lgkmcnt(4)
	v_mul_f32_e32 v89, v2, v96
	v_mul_f32_e32 v2, v2, v95
	s_waitcnt vmcnt(13)
	v_mul_f32_e32 v99, v18, v98
	v_mul_f32_e32 v18, v18, v97
	v_fmac_f32_e32 v89, v1, v95
	v_fma_f32 v146, v1, v96, -v2
	v_fmac_f32_e32 v99, v17, v97
	v_fma_f32 v17, v17, v98, -v18
	ds_read2st64_b64 v[95:98], v100 offset0:50 offset1:52
	s_waitcnt vmcnt(12) lgkmcnt(4)
	v_mul_f32_e32 v1, v121, v104
	v_mul_f32_e32 v147, v121, v105
	s_waitcnt vmcnt(11)
	v_mul_f32_e32 v18, v107, v123
	v_mul_f32_e32 v2, v106, v123
	v_fma_f32 v148, v120, v105, -v1
	s_waitcnt vmcnt(10) lgkmcnt(3)
	v_mul_f32_e32 v1, v108, v125
	v_fmac_f32_e32 v147, v120, v104
	v_fmac_f32_e32 v18, v106, v122
	s_waitcnt vmcnt(8) lgkmcnt(2)
	v_mul_f32_e32 v153, v113, v129
	v_fma_f32 v150, v107, v122, -v2
	v_fma_f32 v152, v109, v124, -v1
	v_mul_f32_e32 v1, v112, v129
	s_waitcnt vmcnt(6) lgkmcnt(1)
	v_mul_f32_e32 v156, v117, v133
	v_fmac_f32_e32 v153, v112, v128
	v_mul_f32_e32 v112, v116, v133
	s_waitcnt vmcnt(5)
	v_mul_f32_e32 v157, v119, v135
	v_mul_f32_e32 v120, v118, v135
	v_fmac_f32_e32 v156, v116, v132
	s_waitcnt vmcnt(4) lgkmcnt(0)
	v_mul_f32_e32 v161, v96, v137
	v_fma_f32 v135, v117, v132, -v112
	v_mul_f32_e32 v116, v95, v137
	s_waitcnt vmcnt(3)
	v_mul_f32_e32 v162, v98, v139
	v_mul_f32_e32 v117, v97, v139
	ds_read2st64_b64 v[104:107], v100 offset0:54 offset1:56
	v_fmac_f32_e32 v161, v95, v136
	v_fma_f32 v139, v96, v136, -v116
	v_fmac_f32_e32 v162, v97, v138
	v_fma_f32 v164, v98, v138, -v117
	ds_read2st64_b64 v[95:98], v100 offset0:8 offset1:10
	v_mul_f32_e32 v149, v109, v125
	v_mul_f32_e32 v151, v111, v127
	;; [unrolled: 1-line block ×4, first 2 shown]
	v_fma_f32 v155, v113, v128, -v1
	v_fmac_f32_e32 v149, v108, v124
	v_fmac_f32_e32 v151, v110, v126
	v_fma_f32 v154, v111, v126, -v2
	v_mul_f32_e32 v2, v114, v131
	v_fmac_f32_e32 v158, v114, v130
	v_fmac_f32_e32 v157, v118, v134
	v_fma_f32 v160, v119, v134, -v120
	ds_read2st64_b64 v[108:111], v100 offset1:2
	v_fma_f32 v159, v115, v130, -v2
	ds_read_b64 v[1:2], v100 offset:29696
	s_waitcnt vmcnt(2) lgkmcnt(3)
	v_mul_f32_e32 v163, v105, v141
	v_mul_f32_e32 v118, v104, v141
	s_waitcnt vmcnt(1)
	v_mul_f32_e32 v165, v107, v143
	v_mul_f32_e32 v120, v106, v143
	s_waitcnt lgkmcnt(2)
	v_sub_f32_e32 v128, v95, v149
	v_sub_f32_e32 v129, v96, v152
	;; [unrolled: 1-line block ×4, first 2 shown]
	ds_read2st64_b64 v[112:115], v100 offset0:4 offset1:6
	v_fmac_f32_e32 v163, v104, v140
	v_fma_f32 v166, v105, v140, -v118
	v_fmac_f32_e32 v165, v106, v142
	v_fma_f32 v167, v107, v142, -v120
	v_fma_f32 v140, v95, 2.0, -v128
	v_fma_f32 v141, v96, 2.0, -v129
	v_fma_f32 v142, v97, 2.0, -v130
	v_fma_f32 v143, v98, 2.0, -v131
	ds_read2st64_b64 v[95:98], v100 offset0:22 offset1:24
	s_waitcnt lgkmcnt(3)
	v_sub_f32_e32 v121, v109, v146
	s_waitcnt vmcnt(0) lgkmcnt(2)
	v_mul_f32_e32 v168, v2, v145
	v_mul_f32_e32 v120, v1, v145
	ds_read2st64_b64 v[116:119], v100 offset0:12 offset1:16
	ds_read2st64_b64 v[104:107], v100 offset0:18 offset1:20
	v_sub_f32_e32 v123, v111, v17
	v_fmac_f32_e32 v168, v1, v144
	v_fma_f32 v1, v2, v144, -v120
	v_add_nc_u32_e32 v17, 0xffffff90, v45
	v_sub_f32_e32 v120, v108, v89
	s_waitcnt lgkmcnt(3)
	v_sub_f32_e32 v124, v112, v147
	v_sub_f32_e32 v125, v113, v148
	;; [unrolled: 1-line block ×4, first 2 shown]
	v_mov_b32_e32 v18, v46
	v_sub_f32_e32 v122, v110, v99
	v_fma_f32 v108, v108, 2.0, -v120
	v_fma_f32 v109, v109, 2.0, -v121
	;; [unrolled: 1-line block ×3, first 2 shown]
	s_waitcnt lgkmcnt(2)
	v_sub_f32_e32 v144, v95, v162
	v_sub_f32_e32 v145, v96, v164
	;; [unrolled: 1-line block ×4, first 2 shown]
	s_waitcnt lgkmcnt(1)
	v_sub_f32_e32 v133, v117, v155
	v_fma_f32 v148, v95, 2.0, -v144
	v_fma_f32 v149, v96, 2.0, -v145
	;; [unrolled: 1-line block ×4, first 2 shown]
	ds_read2st64_b64 v[95:98], v100 offset0:26 offset1:28
	v_sub_f32_e32 v134, v118, v156
	s_waitcnt lgkmcnt(1)
	v_sub_f32_e32 v136, v104, v157
	v_sub_f32_e32 v137, v105, v160
	;; [unrolled: 1-line block ×6, first 2 shown]
	v_fma_f32 v110, v110, 2.0, -v122
	v_fma_f32 v112, v112, 2.0, -v124
	;; [unrolled: 1-line block ×12, first 2 shown]
	s_waitcnt lgkmcnt(0)
	v_sub_f32_e32 v155, v98, v1
	v_add_co_u32 v1, s0, s12, v87
	v_add_co_ci_u32_e64 v2, s0, s13, v88, s0
	v_cmp_gt_u32_e64 s0, 0xf0, v102
	v_sub_f32_e32 v152, v95, v165
	v_sub_f32_e32 v153, v96, v167
	;; [unrolled: 1-line block ×3, first 2 shown]
	v_fma_f32 v107, v107, 2.0, -v139
	v_cndmask_b32_e64 v17, v17, v102, s0
	v_fma_f32 v95, v95, 2.0, -v152
	v_fma_f32 v96, v96, 2.0, -v153
	;; [unrolled: 1-line block ×4, first 2 shown]
	v_lshlrev_b64 v[87:88], 3, v[17:18]
	v_lshrrev_b32_e32 v89, 18, v36
	v_lshlrev_b32_sdwa v99, v103, v28 dst_sel:DWORD dst_unused:UNUSED_PAD src0_sel:DWORD src1_sel:WORD_0
	v_lshlrev_b32_e32 v17, 3, v17
	v_add_co_u32 v156, s0, s12, v87
	v_add_co_ci_u32_e64 v157, s0, s13, v88, s0
	ds_read_b64 v[87:88], v80
	v_cmp_lt_u32_e64 s0, 0x77, v45
	s_waitcnt lgkmcnt(0)
	s_barrier
	buffer_gl0_inv
	v_add_nc_u32_e32 v45, 0xffffffa0, v45
	v_cndmask_b32_e64 v18, 0, 0x780, s0
	v_add3_u32 v3, 0, v18, v3
	v_mov_b32_e32 v18, 0x780
	v_mul_u32_u24_sdwa v11, v11, v18 dst_sel:DWORD dst_unused:UNUSED_PAD src0_sel:WORD_0 src1_sel:DWORD
	v_mul_u32_u24_e32 v18, 0x780, v23
	v_lshrrev_b32_e32 v23, 23, v37
	v_sub_f32_e32 v158, v87, v158
	v_sub_f32_e32 v159, v88, v159
	v_add3_u32 v9, 0, v11, v9
	v_add3_u32 v18, 0, v18, v30
	v_lshrrev_b32_e32 v37, 24, v37
	v_fma_f32 v160, v87, 2.0, -v158
	v_lshrrev_b32_e32 v87, 23, v5
	v_fma_f32 v161, v88, 2.0, -v159
	v_lshrrev_b32_e32 v5, 23, v6
	v_mul_u32_u24_e32 v6, 0x780, v26
	v_lshrrev_b32_e32 v88, 23, v7
	v_mul_u32_u24_e32 v7, 0x780, v29
	v_mul_lo_u16 v22, 0xf0, v87
	v_mul_lo_u16 v5, 0xf0, v5
	v_add3_u32 v6, 0, v6, v32
	v_add3_u32 v7, 0, v7, v34
	v_sub_nc_u16 v22, v66, v22
	ds_write2_b64 v3, v[108:109], v[120:121] offset1:120
	ds_write2_b64 v9, v[110:111], v[122:123] offset1:120
	;; [unrolled: 1-line block ×15, first 2 shown]
	v_mul_lo_u16 v10, 0xf0, v88
	v_lshrrev_b32_e32 v95, 23, v38
	v_sub_nc_u16 v9, v83, v5
	v_lshlrev_b32_sdwa v83, v103, v22 dst_sel:DWORD dst_unused:UNUSED_PAD src0_sel:DWORD src1_sel:WORD_0
	v_mul_lo_u16 v18, 0xf0, v89
	v_sub_nc_u16 v15, v84, v10
	v_mul_lo_u16 v22, 0xf0, v95
	v_add_co_u32 v3, s0, s12, v81
	s_waitcnt lgkmcnt(0)
	s_barrier
	buffer_gl0_inv
	global_load_dwordx2 v[5:6], v[156:157], off offset:1840
	v_add_co_ci_u32_e64 v4, s0, s13, v82, s0
	global_load_dwordx2 v[13:14], v83, s[12:13] offset:1840
	v_mul_lo_u16 v16, 0xf0, v20
	v_lshlrev_b32_sdwa v84, v103, v15 dst_sel:DWORD dst_unused:UNUSED_PAD src0_sel:DWORD src1_sel:WORD_0
	v_mul_lo_u16 v19, 0xf0, v23
	v_lshrrev_b32_e32 v98, 23, v40
	v_sub_nc_u16 v18, v86, v18
	v_sub_nc_u16 v26, v74, v22
	s_clause 0x1
	global_load_dwordx2 v[7:8], v[1:2], off offset:1840
	global_load_dwordx2 v[11:12], v[3:4], off offset:1968
	v_lshlrev_b32_sdwa v93, v103, v9 dst_sel:DWORD dst_unused:UNUSED_PAD src0_sel:DWORD src1_sel:WORD_0
	v_sub_nc_u16 v20, v85, v16
	global_load_dwordx2 v[15:16], v84, s[12:13] offset:1840
	v_sub_nc_u16 v19, v73, v19
	v_lshlrev_b32_sdwa v94, v103, v18 dst_sel:DWORD dst_unused:UNUSED_PAD src0_sel:DWORD src1_sel:WORD_0
	v_mul_lo_u16 v27, 0xf0, v98
	v_lshlrev_b32_sdwa v97, v103, v26 dst_sel:DWORD dst_unused:UNUSED_PAD src0_sel:DWORD src1_sel:WORD_0
	v_mul_lo_u16 v26, 0xf0, v25
	v_lshrrev_b32_e32 v108, 23, v91
	global_load_dwordx2 v[9:10], v93, s[12:13] offset:1840
	v_lshlrev_b32_sdwa v85, v103, v20 dst_sel:DWORD dst_unused:UNUSED_PAD src0_sel:DWORD src1_sel:WORD_0
	v_lshlrev_b32_sdwa v96, v103, v19 dst_sel:DWORD dst_unused:UNUSED_PAD src0_sel:DWORD src1_sel:WORD_0
	global_load_dwordx2 v[22:23], v94, s[12:13] offset:1840
	v_sub_nc_u16 v27, v76, v27
	v_sub_nc_u16 v26, v77, v26
	v_mul_lo_u16 v28, 0xf0, v108
	s_clause 0x3
	global_load_dwordx2 v[18:19], v96, s[12:13] offset:1840
	global_load_dwordx2 v[24:25], v97, s[12:13] offset:1840
	;; [unrolled: 1-line block ×4, first 2 shown]
	v_lshlrev_b32_sdwa v104, v103, v27 dst_sel:DWORD dst_unused:UNUSED_PAD src0_sel:DWORD src1_sel:WORD_0
	v_lshrrev_b32_e32 v27, 23, v92
	v_lshlrev_b32_sdwa v105, v103, v26 dst_sel:DWORD dst_unused:UNUSED_PAD src0_sel:DWORD src1_sel:WORD_0
	v_sub_nc_u16 v26, v78, v28
	v_cmp_lt_u32_e64 s0, 0xef, v102
	global_load_dwordx2 v[34:35], v104, s[12:13] offset:1840
	v_mul_lo_u16 v27, 0xf0, v27
	global_load_dwordx2 v[28:29], v105, s[12:13] offset:1840
	v_lshlrev_b32_sdwa v106, v103, v26 dst_sel:DWORD dst_unused:UNUSED_PAD src0_sel:DWORD src1_sel:WORD_0
	v_cndmask_b32_e64 v102, 0, 0xf00, s0
	v_add_co_u32 v118, s0, 0x800, v1
	v_sub_nc_u16 v26, v79, v27
	global_load_dwordx2 v[30:31], v106, s[12:13] offset:1840
	v_lshrrev_b32_e32 v81, 24, v40
	v_lshrrev_b32_e32 v40, 24, v90
	;; [unrolled: 1-line block ×3, first 2 shown]
	v_lshlrev_b32_sdwa v107, v103, v26 dst_sel:DWORD dst_unused:UNUSED_PAD src0_sel:DWORD src1_sel:WORD_0
	v_lshrrev_b32_e32 v36, 24, v91
	v_lshrrev_b32_e32 v90, 24, v92
	v_add_co_ci_u32_e64 v119, s0, 0, v2, s0
	global_load_dwordx2 v[26:27], v107, s[12:13] offset:1840
	v_mul_lo_u16 v91, 0x1e0, v37
	v_add_co_u32 v37, s0, s12, v71
	v_lshrrev_b32_e32 v38, 24, v38
	v_add3_u32 v127, 0, v102, v17
	v_mul_u32_u24_e32 v17, 0xf00, v87
	v_mul_u32_u24_e32 v102, 0xf00, v88
	v_mul_lo_u16 v87, 0x1e0, v36
	v_mul_lo_u16 v88, 0x1e0, v90
	;; [unrolled: 1-line block ×3, first 2 shown]
	v_add_co_ci_u32_e64 v36, s0, s13, v72, s0
	v_add_co_u32 v120, s0, 0x1000, v3
	v_add_co_ci_u32_e64 v121, s0, 0, v4, s0
	v_mul_lo_u16 v38, 0x1e0, v38
	v_add_co_u32 v122, s0, 0x800, v3
	v_sub_nc_u16 v71, v86, v90
	v_add_co_ci_u32_e64 v123, s0, 0, v4, s0
	v_sub_nc_u16 v72, v73, v91
	v_cmp_gt_u32_e64 s0, 0x1e0, v66
	v_mul_lo_u16 v92, 0x1e0, v81
	v_sub_nc_u16 v38, v74, v38
	v_mul_lo_u16 v40, 0x1e0, v40
	v_lshlrev_b32_sdwa v71, v103, v71 dst_sel:DWORD dst_unused:UNUSED_PAD src0_sel:DWORD src1_sel:WORD_0
	v_cndmask_b32_e64 v45, v45, v66, s0
	v_add_co_u32 v124, s0, 0x800, v37
	v_lshlrev_b32_sdwa v72, v103, v72 dst_sel:DWORD dst_unused:UNUSED_PAD src0_sel:DWORD src1_sel:WORD_0
	v_sub_nc_u16 v75, v76, v92
	v_add_co_ci_u32_e64 v125, s0, 0, v36, s0
	v_lshlrev_b32_sdwa v73, v103, v38 dst_sel:DWORD dst_unused:UNUSED_PAD src0_sel:DWORD src1_sel:WORD_0
	v_sub_nc_u16 v40, v77, v40
	v_add_co_u32 v132, s0, s12, v71
	v_lshlrev_b32_sdwa v74, v103, v39 dst_sel:DWORD dst_unused:UNUSED_PAD src0_sel:DWORD src1_sel:WORD_0
	v_sub_nc_u16 v76, v78, v87
	v_add_co_ci_u32_e64 v133, null, s13, 0, s0
	v_add_co_u32 v134, s0, s12, v72
	v_lshlrev_b32_sdwa v75, v103, v75 dst_sel:DWORD dst_unused:UNUSED_PAD src0_sel:DWORD src1_sel:WORD_0
	v_sub_nc_u16 v77, v79, v88
	v_add_co_ci_u32_e64 v135, null, s13, 0, s0
	v_add_co_u32 v136, s0, s12, v73
	v_lshlrev_b32_sdwa v38, v103, v40 dst_sel:DWORD dst_unused:UNUSED_PAD src0_sel:DWORD src1_sel:WORD_0
	v_add_co_ci_u32_e64 v137, null, s13, 0, s0
	v_add_co_u32 v138, s0, s12, v74
	v_lshlrev_b32_sdwa v39, v103, v76 dst_sel:DWORD dst_unused:UNUSED_PAD src0_sel:DWORD src1_sel:WORD_0
	;; [unrolled: 3-line block ×3, first 2 shown]
	v_lshlrev_b64 v[87:88], 3, v[45:46]
	v_add_co_ci_u32_e64 v141, null, s13, 0, s0
	v_add_co_u32 v142, s0, s12, v38
	v_add_co_ci_u32_e64 v143, null, s13, 0, s0
	v_add_co_u32 v144, s0, s12, v39
	v_mul_u32_u24_e32 v89, 0xf00, v89
	v_add_co_ci_u32_e64 v145, null, s13, 0, s0
	v_add_co_u32 v146, s0, s12, v40
	v_add_co_ci_u32_e64 v147, null, s13, 0, s0
	v_add_co_u32 v148, s0, s12, v87
	v_add3_u32 v130, 0, v89, v94
	ds_read2st64_b64 v[76:79], v100 offset0:30 offset1:32
	v_add_co_ci_u32_e64 v149, s0, s13, v88, s0
	ds_read2st64_b64 v[87:90], v100 offset0:34 offset1:36
	v_mul_u32_u24_e32 v95, 0xf00, v95
	v_mul_u32_u24_e32 v98, 0xf00, v98
	;; [unrolled: 1-line block ×3, first 2 shown]
	v_add3_u32 v128, 0, v17, v83
	v_add_nc_u32_e32 v17, 0, v93
	v_add_nc_u32_e32 v91, 0, v99
	;; [unrolled: 1-line block ×4, first 2 shown]
	v_add3_u32 v129, 0, v102, v84
	v_add_nc_u32_e32 v83, 0, v85
	v_add_nc_u32_e32 v84, 0, v96
	v_add3_u32 v85, 0, v95, v97
	v_add3_u32 v99, 0, v98, v104
	;; [unrolled: 1-line block ×3, first 2 shown]
	v_add_nc_u32_e32 v153, 0x4b00, v91
	v_add_nc_u32_e32 v154, 0x5a00, v92
	;; [unrolled: 1-line block ×3, first 2 shown]
	ds_read2st64_b64 v[91:94], v100 offset0:38 offset1:40
	ds_read2st64_b64 v[95:98], v100 offset0:42 offset1:44
	;; [unrolled: 1-line block ×5, first 2 shown]
	v_add_nc_u32_e32 v150, 0x1e00, v17
	v_add_nc_u32_e32 v151, 0x2d00, v83
	;; [unrolled: 1-line block ×3, first 2 shown]
	ds_read2st64_b64 v[114:117], v100 offset1:2
	v_add_nc_u32_e32 v126, 0xf80, v100
	v_mul_u32_u24_e32 v82, 0x1e00, v82
	v_mul_u32_u24_e32 v81, 0x1e00, v81
	v_add_nc_u32_e32 v40, 0, v40
	s_waitcnt vmcnt(14) lgkmcnt(7)
	v_mul_f32_e32 v157, v6, v79
	v_mul_f32_e32 v6, v6, v78
	s_waitcnt vmcnt(13) lgkmcnt(6)
	v_mul_f32_e32 v159, v90, v14
	v_fmac_f32_e32 v157, v5, v78
	v_fma_f32 v78, v5, v79, -v6
	v_mul_f32_e32 v6, v89, v14
	v_fmac_f32_e32 v159, v89, v13
	s_waitcnt vmcnt(12)
	v_mul_f32_e32 v156, v8, v77
	s_waitcnt vmcnt(11)
	v_mul_f32_e32 v79, v12, v88
	v_mul_f32_e32 v5, v12, v87
	;; [unrolled: 1-line block ×3, first 2 shown]
	s_waitcnt vmcnt(10) lgkmcnt(5)
	v_mul_f32_e32 v89, v94, v16
	v_fmac_f32_e32 v156, v7, v76
	v_fmac_f32_e32 v79, v11, v87
	v_fma_f32 v87, v11, v88, -v5
	v_fma_f32 v88, v90, v13, -v6
	v_mul_f32_e32 v13, v93, v16
	v_fmac_f32_e32 v89, v93, v15
	s_waitcnt vmcnt(9)
	v_mul_f32_e32 v160, v92, v10
	v_mul_f32_e32 v10, v91, v10
	v_fma_f32 v158, v7, v77, -v8
	s_waitcnt vmcnt(8) lgkmcnt(4)
	v_mul_f32_e32 v93, v98, v23
	ds_read_b64 v[76:77], v80
	ds_read_b64 v[83:84], v100 offset:29696
	v_fmac_f32_e32 v160, v91, v9
	v_fma_f32 v90, v92, v9, -v10
	v_fma_f32 v91, v94, v15, -v13
	v_mul_f32_e32 v14, v97, v23
	s_waitcnt vmcnt(7) lgkmcnt(5)
	v_mul_f32_e32 v94, v103, v19
	s_waitcnt vmcnt(4)
	v_mul_f32_e32 v92, v96, v21
	v_mul_f32_e32 v13, v95, v21
	;; [unrolled: 1-line block ×3, first 2 shown]
	v_fmac_f32_e32 v93, v97, v22
	v_mul_f32_e32 v97, v105, v25
	v_mul_f32_e32 v21, v104, v25
	v_fmac_f32_e32 v92, v95, v20
	v_fma_f32 v95, v96, v20, -v13
	v_fma_f32 v96, v98, v22, -v14
	v_fmac_f32_e32 v94, v102, v18
	v_fma_f32 v98, v103, v18, -v17
	v_fmac_f32_e32 v97, v104, v24
	v_fma_f32 v102, v105, v24, -v21
	s_waitcnt lgkmcnt(4)
	v_mul_f32_e32 v103, v107, v33
	v_mul_f32_e32 v21, v106, v33
	s_waitcnt vmcnt(3)
	v_mul_f32_e32 v104, v109, v35
	v_mul_f32_e32 v22, v108, v35
	ds_read2st64_b64 v[5:8], v100 offset0:4 offset1:6
	ds_read2st64_b64 v[9:12], v100 offset0:8 offset1:10
	;; [unrolled: 1-line block ×4, first 2 shown]
	s_waitcnt vmcnt(2) lgkmcnt(7)
	v_mul_f32_e32 v35, v111, v29
	v_mul_f32_e32 v25, v110, v29
	v_fmac_f32_e32 v103, v106, v32
	v_fma_f32 v105, v107, v32, -v21
	v_fmac_f32_e32 v104, v108, v34
	v_fma_f32 v106, v109, v34, -v22
	ds_read2st64_b64 v[21:24], v100 offset0:22 offset1:24
	s_waitcnt vmcnt(1)
	v_mul_f32_e32 v107, v113, v31
	v_mul_f32_e32 v29, v112, v31
	ds_read2st64_b64 v[31:34], v100 offset0:26 offset1:28
	v_fmac_f32_e32 v35, v110, v28
	v_fma_f32 v108, v111, v28, -v25
	s_waitcnt vmcnt(0) lgkmcnt(6)
	v_mul_f32_e32 v110, v84, v27
	v_mul_f32_e32 v25, v83, v27
	v_fmac_f32_e32 v107, v112, v30
	v_fma_f32 v109, v113, v30, -v29
	v_sub_f32_e32 v27, v116, v157
	v_fmac_f32_e32 v110, v83, v26
	v_fma_f32 v111, v84, v26, -v25
	v_sub_f32_e32 v25, v114, v156
	v_sub_f32_e32 v26, v115, v158
	v_sub_f32_e32 v28, v117, v78
	s_waitcnt lgkmcnt(5)
	v_sub_f32_e32 v29, v5, v79
	v_sub_f32_e32 v30, v6, v87
	v_sub_f32_e32 v78, v7, v159
	v_sub_f32_e32 v79, v8, v88
	s_waitcnt lgkmcnt(4)
	v_sub_f32_e32 v83, v9, v160
	;; [unrolled: 5-line block ×3, first 2 shown]
	v_sub_f32_e32 v90, v14, v95
	v_sub_f32_e32 v91, v76, v93
	;; [unrolled: 1-line block ×5, first 2 shown]
	s_waitcnt lgkmcnt(2)
	v_sub_f32_e32 v95, v17, v97
	v_sub_f32_e32 v96, v18, v102
	v_sub_f32_e32 v97, v19, v103
	v_sub_f32_e32 v98, v20, v105
	s_waitcnt lgkmcnt(1)
	v_sub_f32_e32 v102, v21, v104
	v_sub_f32_e32 v103, v22, v106
	v_sub_f32_e32 v104, v23, v35
	v_sub_f32_e32 v105, v24, v108
	;; [unrolled: 5-line block ×3, first 2 shown]
	v_fma_f32 v110, v114, 2.0, -v25
	v_fma_f32 v111, v115, 2.0, -v26
	;; [unrolled: 1-line block ×10, first 2 shown]
	s_barrier
	buffer_gl0_inv
	v_fma_f32 v11, v11, 2.0, -v87
	v_fma_f32 v12, v12, 2.0, -v88
	;; [unrolled: 1-line block ×20, first 2 shown]
	ds_write2_b64 v100, v[110:111], v[25:26] offset1:240
	ds_write2_b64 v127, v[112:113], v[27:28] offset1:240
	;; [unrolled: 1-line block ×15, first 2 shown]
	v_add_co_u32 v5, s0, 0x800, v132
	v_add_co_ci_u32_e64 v6, s0, 0, v133, s0
	v_add_co_u32 v9, s0, 0x800, v134
	v_add_co_ci_u32_e64 v10, s0, 0, v135, s0
	;; [unrolled: 2-line block ×3, first 2 shown]
	v_add_co_u32 v13, s0, 0x800, v136
	s_waitcnt lgkmcnt(0)
	s_barrier
	buffer_gl0_inv
	s_clause 0x2
	global_load_dwordx2 v[33:34], v[118:119], off offset:1712
	global_load_dwordx2 v[31:32], v[120:121], off offset:688
	;; [unrolled: 1-line block ×3, first 2 shown]
	v_add_co_ci_u32_e64 v14, s0, 0, v137, s0
	v_add_co_u32 v15, s0, 0x800, v138
	v_add_co_ci_u32_e64 v16, s0, 0, v139, s0
	v_add_co_u32 v17, s0, 0x800, v140
	;; [unrolled: 2-line block ×3, first 2 shown]
	v_add_co_ci_u32_e64 v20, s0, 0, v143, s0
	s_clause 0x1
	global_load_dwordx2 v[27:28], v[7:8], off offset:1712
	global_load_dwordx2 v[25:26], v[122:123], off offset:1968
	v_add_co_u32 v21, s0, 0x800, v144
	v_add_co_ci_u32_e64 v22, s0, 0, v145, s0
	v_add_co_u32 v76, s0, 0x800, v146
	s_clause 0x3
	global_load_dwordx2 v[23:24], v[120:121], off offset:944
	global_load_dwordx2 v[11:12], v[120:121], off offset:1968
	;; [unrolled: 1-line block ×4, first 2 shown]
	v_add_co_ci_u32_e64 v77, s0, 0, v147, s0
	s_clause 0x5
	global_load_dwordx2 v[13:14], v[13:14], off offset:1712
	global_load_dwordx2 v[9:10], v[15:16], off offset:1712
	global_load_dwordx2 v[15:16], v[17:18], off offset:1712
	global_load_dwordx2 v[17:18], v[19:20], off offset:1712
	global_load_dwordx2 v[19:20], v[21:22], off offset:1712
	global_load_dwordx2 v[21:22], v[76:77], off offset:1712
	v_add_co_u32 v134, s0, 0x1800, v1
	v_add_co_ci_u32_e64 v135, s0, 0, v2, s0
	v_cmp_lt_u32_e64 s0, 0x1df, v66
	v_subrev_nc_u32_e32 v79, 64, v0
	v_add3_u32 v85, 0, v82, v71
	v_add_nc_u32_e32 v99, 0, v72
	v_add_nc_u32_e32 v152, 0, v73
	v_cndmask_b32_e64 v83, 0, 0x1e00, s0
	v_add_co_u32 v136, s0, 0x2000, v3
	v_add_co_ci_u32_e64 v137, s0, 0, v4, s0
	v_add_co_u32 v66, s0, s12, v62
	v_add_co_ci_u32_e64 v63, s0, s13, v63, s0
	;; [unrolled: 2-line block ×11, first 2 shown]
	v_lshlrev_b32_e32 v68, 3, v45
	v_cmp_gt_u32_e64 s0, 0x3c0, v86
	v_add_nc_u32_e32 v153, 0, v74
	v_add3_u32 v154, 0, v81, v75
	v_add_nc_u32_e32 v155, 0, v38
	v_add_nc_u32_e32 v156, 0, v39
	v_cndmask_b32_e64 v45, v79, v86, s0
	v_add3_u32 v79, 0, v83, v68
	ds_read2st64_b64 v[68:71], v100 offset0:30 offset1:32
	v_add_nc_u32_e32 v76, 0x800, v100
	v_add_nc_u32_e32 v77, 0x100, v100
	v_lshlrev_b64 v[72:73], 3, v[45:46]
	v_add_nc_u32_e32 v78, 0x2700, v100
	v_add_co_u32 v157, s0, s12, v72
	v_add_co_ci_u32_e64 v158, s0, s13, v73, s0
	ds_read2st64_b64 v[72:75], v100 offset0:34 offset1:36
	ds_read2st64_b64 v[81:84], v100 offset0:38 offset1:40
	;; [unrolled: 1-line block ×6, first 2 shown]
	ds_read2st64_b64 v[106:109], v100 offset1:2
	ds_read2st64_b64 v[110:113], v100 offset0:4 offset1:6
	ds_read_b64 v[38:39], v80
	ds_read_b64 v[150:151], v100 offset:29696
	ds_read2st64_b64 v[114:117], v100 offset0:8 offset1:10
	ds_read2st64_b64 v[118:121], v100 offset0:12 offset1:16
	;; [unrolled: 1-line block ×5, first 2 shown]
	s_waitcnt vmcnt(0) lgkmcnt(0)
	s_barrier
	buffer_gl0_inv
	v_mul_f32_e32 v159, v34, v69
	v_mul_f32_e32 v34, v34, v68
	v_fmac_f32_e32 v159, v33, v68
	v_fma_f32 v33, v33, v69, -v34
	v_mul_f32_e32 v34, v32, v71
	v_mul_f32_e32 v32, v32, v70
	v_fmac_f32_e32 v34, v31, v70
	v_fma_f32 v31, v31, v71, -v32
	v_mul_f32_e32 v32, v30, v73
	v_mul_f32_e32 v30, v30, v72
	;; [unrolled: 1-line block ×6, first 2 shown]
	v_fmac_f32_e32 v32, v29, v72
	v_fma_f32 v29, v29, v73, -v30
	v_fmac_f32_e32 v68, v74, v27
	v_mul_f32_e32 v30, v84, v24
	v_mul_f32_e32 v24, v83, v24
	v_fma_f32 v27, v75, v27, -v28
	v_mul_f32_e32 v28, v88, v12
	v_mul_f32_e32 v12, v87, v12
	;; [unrolled: 1-line block ×6, first 2 shown]
	v_fmac_f32_e32 v69, v81, v25
	v_fma_f32 v25, v82, v25, -v26
	v_mul_f32_e32 v26, v94, v14
	v_mul_f32_e32 v14, v93, v14
	v_fmac_f32_e32 v30, v83, v23
	v_fma_f32 v23, v84, v23, -v24
	v_mul_f32_e32 v24, v96, v10
	v_mul_f32_e32 v10, v95, v10
	;; [unrolled: 1-line block ×6, first 2 shown]
	v_fmac_f32_e32 v28, v87, v11
	v_fma_f32 v74, v88, v11, -v12
	v_mul_f32_e32 v75, v105, v20
	v_mul_f32_e32 v11, v104, v20
	v_fmac_f32_e32 v70, v89, v7
	v_fma_f32 v81, v90, v7, -v8
	v_mul_f32_e32 v82, v151, v22
	v_mul_f32_e32 v7, v150, v22
	v_fmac_f32_e32 v71, v91, v5
	v_fma_f32 v20, v92, v5, -v6
	v_fmac_f32_e32 v26, v93, v13
	v_fma_f32 v22, v94, v13, -v14
	;; [unrolled: 2-line block ×7, first 2 shown]
	v_sub_f32_e32 v7, v110, v32
	v_sub_f32_e32 v8, v111, v29
	;; [unrolled: 1-line block ×30, first 2 shown]
	v_fma_f32 v68, v110, 2.0, -v7
	v_fma_f32 v69, v111, 2.0, -v8
	;; [unrolled: 1-line block ×12, first 2 shown]
	ds_write2st64_b64 v77, v[9:10], v[7:8] offset0:9 offset1:11
	v_fma_f32 v7, v118, 2.0, -v17
	v_fma_f32 v8, v119, 2.0, -v18
	;; [unrolled: 1-line block ×18, first 2 shown]
	ds_write2_b64 v76, v[68:69], v[5:6] offset1:224
	ds_write2st64_b64 v100, v[70:71], v[72:73] offset1:2
	ds_write_b64 v79, v[74:75]
	ds_write_b64 v79, v[11:12] offset:3840
	ds_write2st64_b64 v77, v[81:82], v[83:84] offset0:15 offset1:17
	ds_write2_b64 v78, v[7:8], v[13:14] offset1:224
	ds_write2st64_b64 v100, v[15:16], v[17:18] offset0:25 offset1:27
	ds_write_b64 v85, v[38:39]
	ds_write_b64 v85, v[33:34] offset:3840
	ds_write_b64 v99, v[9:10] offset:15360
	;; [unrolled: 1-line block ×7, first 2 shown]
	ds_write_b64 v154, v[91:92]
	ds_write_b64 v154, v[25:26] offset:3840
	ds_write_b64 v155, v[93:94] offset:23040
	;; [unrolled: 1-line block ×7, first 2 shown]
	v_add_co_u32 v19, s0, 0x1800, v157
	v_add_co_ci_u32_e64 v20, s0, 0, v158, s0
	v_add_co_u32 v27, s0, 0x2800, v3
	v_add_co_ci_u32_e64 v28, s0, 0, v4, s0
	v_add_co_u32 v33, s0, 0x3000, v3
	s_waitcnt lgkmcnt(0)
	s_barrier
	buffer_gl0_inv
	s_clause 0x2
	global_load_dwordx2 v[17:18], v[134:135], off offset:1456
	global_load_dwordx2 v[13:14], v[136:137], off offset:432
	;; [unrolled: 1-line block ×3, first 2 shown]
	v_add_co_ci_u32_e64 v34, s0, 0, v4, s0
	s_clause 0xb
	global_load_dwordx2 v[15:16], v[142:143], off offset:1456
	global_load_dwordx2 v[11:12], v[144:145], off offset:1456
	global_load_dwordx2 v[7:8], v[146:147], off offset:1456
	global_load_dwordx2 v[5:6], v[148:149], off offset:1456
	global_load_dwordx2 v[23:24], v[19:20], off offset:1456
	global_load_dwordx2 v[21:22], v[138:139], off offset:1968
	global_load_dwordx2 v[19:20], v[136:137], off offset:944
	global_load_dwordx2 v[25:26], v[136:137], off offset:1968
	global_load_dwordx2 v[29:30], v[27:28], off offset:944
	global_load_dwordx2 v[27:28], v[27:28], off offset:1968
	global_load_dwordx2 v[31:32], v[33:34], off offset:944
	global_load_dwordx2 v[33:34], v[33:34], off offset:1968
	v_add_co_u32 v39, s0, 0x3800, v1
	v_add_co_ci_u32_e64 v40, s0, 0, v2, s0
	v_add_co_u32 v1, s0, s12, v101
	v_add_co_ci_u32_e64 v2, null, s13, 0, s0
	v_cmp_lt_u32_e64 s0, 0x3bf, v86
	v_cndmask_b32_e64 v38, 0, 0x3c00, s0
	v_add_co_u32 v97, s0, 0x3800, v1
	v_add_co_ci_u32_e64 v98, s0, 0, v2, s0
	v_add_co_u32 v101, s0, 0x3800, v3
	v_add_co_ci_u32_e64 v102, s0, 0, v4, s0
	;; [unrolled: 2-line block ×15, first 2 shown]
	v_add_co_u32 v115, s0, 0x3800, v3
	ds_read2st64_b64 v[0:3], v100 offset0:30 offset1:32
	v_add_co_ci_u32_e64 v116, s0, 0, v4, s0
	v_add_co_u32 v117, s0, 0x3800, v48
	v_lshlrev_b32_e32 v4, 3, v45
	v_add_co_ci_u32_e64 v118, s0, 0, v49, s0
	v_add_co_u32 v119, s0, 0x3800, v50
	v_add_co_ci_u32_e64 v120, s0, 0, v51, s0
	v_add3_u32 v45, 0, v38, v4
	ds_read2st64_b64 v[35:38], v100 offset0:34 offset1:36
	ds_read2st64_b64 v[48:51], v100 offset0:38 offset1:40
	ds_read2st64_b64 v[52:55], v100 offset0:42 offset1:44
	ds_read2st64_b64 v[56:59], v100 offset0:46 offset1:48
	ds_read2st64_b64 v[60:63], v100 offset0:50 offset1:52
	ds_read2st64_b64 v[64:67], v100 offset0:54 offset1:56
	ds_read2st64_b64 v[68:71], v100 offset1:2
	ds_read2st64_b64 v[72:75], v100 offset0:4 offset1:6
	ds_read2st64_b64 v[76:79], v100 offset0:8 offset1:10
	ds_read_b64 v[121:122], v80
	ds_read_b64 v[123:124], v100 offset:29696
	ds_read2st64_b64 v[81:84], v100 offset0:12 offset1:16
	ds_read2st64_b64 v[85:88], v100 offset0:18 offset1:20
	;; [unrolled: 1-line block ×4, first 2 shown]
	s_waitcnt vmcnt(0) lgkmcnt(0)
	s_barrier
	buffer_gl0_inv
	v_mul_f32_e32 v4, v18, v1
	v_mul_f32_e32 v18, v18, v0
	;; [unrolled: 1-line block ×30, first 2 shown]
	v_fmac_f32_e32 v4, v17, v0
	v_fma_f32 v1, v17, v1, -v18
	v_fmac_f32_e32 v130, v13, v2
	v_fma_f32 v3, v13, v3, -v14
	;; [unrolled: 2-line block ×15, first 2 shown]
	v_sub_f32_e32 v0, v68, v4
	v_sub_f32_e32 v1, v69, v1
	;; [unrolled: 1-line block ×30, first 2 shown]
	v_fma_f32 v30, v68, 2.0, -v0
	v_fma_f32 v31, v69, 2.0, -v1
	;; [unrolled: 1-line block ×12, first 2 shown]
	ds_write2st64_b64 v100, v[2:3], v[4:5] offset0:17 offset1:19
	ds_write2st64_b64 v100, v[6:7], v[8:9] offset0:21 offset1:23
	;; [unrolled: 1-line block ×3, first 2 shown]
	v_fma_f32 v2, v81, 2.0, -v12
	v_fma_f32 v3, v82, 2.0, -v13
	;; [unrolled: 1-line block ×18, first 2 shown]
	ds_write2st64_b64 v100, v[30:31], v[32:33] offset1:2
	ds_write2st64_b64 v100, v[34:35], v[36:37] offset0:4 offset1:6
	ds_write2st64_b64 v100, v[48:49], v[50:51] offset0:8 offset1:10
	;; [unrolled: 1-line block ×3, first 2 shown]
	ds_write2st64_b64 v45, v[4:5], v[14:15] offset1:15
	ds_write2st64_b64 v100, v[6:7], v[8:9] offset0:31 offset1:33
	ds_write2st64_b64 v100, v[18:19], v[20:21] offset0:48 offset1:50
	;; [unrolled: 1-line block ×7, first 2 shown]
	v_add_co_u32 v0, s0, 0x3800, v99
	v_add_co_ci_u32_e64 v1, s0, 0, v125, s0
	v_add_co_u32 v2, s0, 0x3800, v126
	v_add_co_ci_u32_e64 v3, s0, 0, v127, s0
	;; [unrolled: 2-line block ×3, first 2 shown]
	s_waitcnt lgkmcnt(0)
	s_barrier
	buffer_gl0_inv
	s_clause 0xe
	global_load_dwordx2 v[64:65], v[39:40], off offset:944
	global_load_dwordx2 v[66:67], v[101:102], off offset:1968
	;; [unrolled: 1-line block ×15, first 2 shown]
	ds_read2st64_b64 v[0:3], v100 offset0:30 offset1:32
	ds_read2st64_b64 v[4:7], v100 offset0:34 offset1:36
	ds_read2st64_b64 v[8:11], v100 offset1:2
	ds_read2st64_b64 v[12:15], v100 offset0:38 offset1:40
	ds_read2st64_b64 v[16:19], v100 offset0:42 offset1:44
	;; [unrolled: 1-line block ×11, first 2 shown]
	ds_read_b64 v[95:96], v100 offset:29696
	ds_read_b64 v[97:98], v80
	s_waitcnt vmcnt(0) lgkmcnt(0)
	s_barrier
	buffer_gl0_inv
	v_mul_f32_e32 v40, v65, v1
	v_mul_f32_e32 v45, v65, v0
	;; [unrolled: 1-line block ×30, first 2 shown]
	v_fmac_f32_e32 v40, v64, v0
	v_fma_f32 v1, v64, v1, -v45
	v_fmac_f32_e32 v65, v66, v2
	v_fma_f32 v3, v66, v3, -v67
	;; [unrolled: 2-line block ×15, first 2 shown]
	v_sub_f32_e32 v0, v8, v40
	v_sub_f32_e32 v1, v9, v1
	;; [unrolled: 1-line block ×30, first 2 shown]
	v_fma_f32 v8, v8, 2.0, -v0
	v_fma_f32 v9, v9, 2.0, -v1
	;; [unrolled: 1-line block ×28, first 2 shown]
	ds_write2st64_b64 v100, v[0:1], v[2:3] offset0:30 offset1:32
	v_fma_f32 v0, v97, 2.0, -v64
	v_fma_f32 v1, v98, 2.0, -v65
	ds_write2st64_b64 v100, v[4:5], v[6:7] offset0:34 offset1:36
	ds_write2st64_b64 v100, v[12:13], v[14:15] offset0:38 offset1:40
	ds_write_b64 v100, v[16:17] offset:21504
	ds_write2st64_b64 v100, v[8:9], v[10:11] offset1:2
	ds_write2st64_b64 v100, v[32:33], v[34:35] offset0:4 offset1:6
	ds_write2st64_b64 v100, v[36:37], v[38:39] offset0:8 offset1:10
	ds_write_b64 v100, v[48:49] offset:6144
	ds_write2st64_b64 v80, v[0:1], v[64:65] offset1:30
	ds_write2st64_b64 v100, v[50:51], v[52:53] offset0:16 offset1:18
	ds_write2st64_b64 v100, v[18:19], v[20:21] offset0:46 offset1:48
	ds_write2st64_b64 v100, v[54:55], v[56:57] offset0:20 offset1:22
	ds_write2st64_b64 v100, v[22:23], v[24:25] offset0:50 offset1:52
	ds_write2st64_b64 v100, v[58:59], v[60:61] offset0:24 offset1:26
	ds_write2st64_b64 v100, v[26:27], v[28:29] offset0:54 offset1:56
	ds_write_b64 v100, v[62:63] offset:14336
	ds_write_b64 v100, v[30:31] offset:29696
	s_waitcnt lgkmcnt(0)
	s_barrier
	buffer_gl0_inv
	s_and_saveexec_b32 s0, vcc_lo
	s_cbranch_execz .LBB0_21
; %bb.20:
	v_mul_lo_u32 v2, s3, v43
	v_mul_lo_u32 v3, s2, v44
	v_mad_u64_u32 v[0:1], null, s2, v43, 0
	v_lshl_add_u32 v20, v47, 3, 0
	v_mov_b32_e32 v48, v46
	v_lshlrev_b64 v[8:9], 3, v[41:42]
	v_add_nc_u32_e32 v45, 0x80, v47
	ds_read2st64_b64 v[4:7], v20 offset0:4 offset1:6
	v_add3_u32 v1, v1, v3, v2
	v_lshlrev_b64 v[14:15], 3, v[47:48]
	v_lshlrev_b64 v[10:11], 3, v[45:46]
	v_add_nc_u32_e32 v45, 0x100, v47
	v_lshlrev_b64 v[12:13], 3, v[0:1]
	ds_read2st64_b64 v[0:3], v20 offset1:2
	v_lshlrev_b64 v[16:17], 3, v[45:46]
	v_add_nc_u32_e32 v45, 0x180, v47
	v_add_co_u32 v12, vcc_lo, s10, v12
	v_add_co_ci_u32_e32 v13, vcc_lo, s11, v13, vcc_lo
	v_add_co_u32 v21, vcc_lo, v12, v8
	v_add_co_ci_u32_e32 v22, vcc_lo, v13, v9, vcc_lo
	v_lshlrev_b64 v[12:13], 3, v[45:46]
	v_add_co_u32 v8, vcc_lo, v21, v14
	v_add_co_ci_u32_e32 v9, vcc_lo, v22, v15, vcc_lo
	v_add_co_u32 v14, vcc_lo, v21, v10
	v_add_co_ci_u32_e32 v15, vcc_lo, v22, v11, vcc_lo
	s_waitcnt lgkmcnt(0)
	global_store_dwordx2 v[8:9], v[0:1], off
	ds_read2st64_b64 v[8:11], v20 offset0:8 offset1:10
	v_add_nc_u32_e32 v45, 0x200, v47
	v_add_co_u32 v0, vcc_lo, v21, v16
	v_add_co_ci_u32_e32 v1, vcc_lo, v22, v17, vcc_lo
	v_lshlrev_b64 v[16:17], 3, v[45:46]
	v_add_nc_u32_e32 v45, 0x280, v47
	v_add_co_u32 v12, vcc_lo, v21, v12
	v_add_co_ci_u32_e32 v13, vcc_lo, v22, v13, vcc_lo
	v_lshlrev_b64 v[18:19], 3, v[45:46]
	v_add_nc_u32_e32 v45, 0x300, v47
	v_add_co_u32 v16, vcc_lo, v21, v16
	v_add_co_ci_u32_e32 v17, vcc_lo, v22, v17, vcc_lo
	global_store_dwordx2 v[14:15], v[2:3], off
	global_store_dwordx2 v[0:1], v[4:5], off
	;; [unrolled: 1-line block ×3, first 2 shown]
	s_waitcnt lgkmcnt(0)
	global_store_dwordx2 v[16:17], v[8:9], off
	v_lshlrev_b64 v[8:9], 3, v[45:46]
	v_add_nc_u32_e32 v45, 0x380, v47
	ds_read2st64_b64 v[0:3], v20 offset0:12 offset1:14
	ds_read2st64_b64 v[4:7], v20 offset0:16 offset1:18
	v_add_co_u32 v12, vcc_lo, v21, v18
	v_lshlrev_b64 v[14:15], 3, v[45:46]
	v_add_nc_u32_e32 v45, 0x400, v47
	v_add_co_ci_u32_e32 v13, vcc_lo, v22, v19, vcc_lo
	v_add_co_u32 v8, vcc_lo, v21, v8
	v_lshlrev_b64 v[16:17], 3, v[45:46]
	v_add_nc_u32_e32 v45, 0x480, v47
	v_add_co_ci_u32_e32 v9, vcc_lo, v22, v9, vcc_lo
	v_add_co_u32 v14, vcc_lo, v21, v14
	v_add_co_ci_u32_e32 v15, vcc_lo, v22, v15, vcc_lo
	v_lshlrev_b64 v[18:19], 3, v[45:46]
	v_add_nc_u32_e32 v45, 0x500, v47
	v_add_co_u32 v16, vcc_lo, v21, v16
	v_add_co_ci_u32_e32 v17, vcc_lo, v22, v17, vcc_lo
	global_store_dwordx2 v[12:13], v[10:11], off
	s_waitcnt lgkmcnt(1)
	global_store_dwordx2 v[8:9], v[0:1], off
	global_store_dwordx2 v[14:15], v[2:3], off
	s_waitcnt lgkmcnt(0)
	global_store_dwordx2 v[16:17], v[4:5], off
	v_lshlrev_b64 v[4:5], 3, v[45:46]
	v_add_nc_u32_e32 v45, 0x580, v47
	ds_read2st64_b64 v[0:3], v20 offset0:20 offset1:22
	ds_read2st64_b64 v[8:11], v20 offset0:24 offset1:26
	v_add_co_u32 v12, vcc_lo, v21, v18
	v_lshlrev_b64 v[14:15], 3, v[45:46]
	v_add_nc_u32_e32 v45, 0x600, v47
	v_add_co_ci_u32_e32 v13, vcc_lo, v22, v19, vcc_lo
	v_add_co_u32 v4, vcc_lo, v21, v4
	v_lshlrev_b64 v[16:17], 3, v[45:46]
	v_add_nc_u32_e32 v45, 0x680, v47
	v_add_co_ci_u32_e32 v5, vcc_lo, v22, v5, vcc_lo
	v_add_co_u32 v14, vcc_lo, v21, v14
	v_add_co_ci_u32_e32 v15, vcc_lo, v22, v15, vcc_lo
	v_lshlrev_b64 v[18:19], 3, v[45:46]
	v_add_nc_u32_e32 v45, 0x700, v47
	v_add_co_u32 v16, vcc_lo, v21, v16
	v_add_co_ci_u32_e32 v17, vcc_lo, v22, v17, vcc_lo
	global_store_dwordx2 v[12:13], v[6:7], off
	s_waitcnt lgkmcnt(1)
	global_store_dwordx2 v[4:5], v[0:1], off
	global_store_dwordx2 v[14:15], v[2:3], off
	;; [unrolled: 24-line block ×5, first 2 shown]
	s_waitcnt lgkmcnt(0)
	global_store_dwordx2 v[16:17], v[4:5], off
	v_lshlrev_b64 v[4:5], 3, v[45:46]
	v_add_nc_u32_e32 v45, 0xd80, v47
	ds_read2st64_b64 v[0:3], v20 offset0:52 offset1:54
	ds_read2st64_b64 v[8:11], v20 offset0:56 offset1:58
	v_add_co_u32 v12, vcc_lo, v21, v18
	v_lshlrev_b64 v[14:15], 3, v[45:46]
	v_add_nc_u32_e32 v45, 0xe00, v47
	v_add_co_ci_u32_e32 v13, vcc_lo, v22, v19, vcc_lo
	v_add_co_u32 v4, vcc_lo, v21, v4
	v_lshlrev_b64 v[16:17], 3, v[45:46]
	v_add_nc_u32_e32 v45, 0xe80, v47
	v_add_co_ci_u32_e32 v5, vcc_lo, v22, v5, vcc_lo
	v_add_co_u32 v14, vcc_lo, v21, v14
	v_lshlrev_b64 v[18:19], 3, v[45:46]
	v_add_co_ci_u32_e32 v15, vcc_lo, v22, v15, vcc_lo
	v_add_co_u32 v16, vcc_lo, v21, v16
	v_add_co_ci_u32_e32 v17, vcc_lo, v22, v17, vcc_lo
	v_add_co_u32 v18, vcc_lo, v21, v18
	v_add_co_ci_u32_e32 v19, vcc_lo, v22, v19, vcc_lo
	global_store_dwordx2 v[12:13], v[6:7], off
	s_waitcnt lgkmcnt(1)
	global_store_dwordx2 v[4:5], v[0:1], off
	global_store_dwordx2 v[14:15], v[2:3], off
	s_waitcnt lgkmcnt(0)
	global_store_dwordx2 v[16:17], v[8:9], off
	global_store_dwordx2 v[18:19], v[10:11], off
.LBB0_21:
	s_endpgm
	.section	.rodata,"a",@progbits
	.p2align	6, 0x0
	.amdhsa_kernel fft_rtc_back_len3840_factors_10_6_2_2_2_2_2_2_wgs_128_tpt_128_halfLds_sp_op_CI_CI_unitstride_sbrr_C2R_dirReg
		.amdhsa_group_segment_fixed_size 0
		.amdhsa_private_segment_fixed_size 0
		.amdhsa_kernarg_size 104
		.amdhsa_user_sgpr_count 6
		.amdhsa_user_sgpr_private_segment_buffer 1
		.amdhsa_user_sgpr_dispatch_ptr 0
		.amdhsa_user_sgpr_queue_ptr 0
		.amdhsa_user_sgpr_kernarg_segment_ptr 1
		.amdhsa_user_sgpr_dispatch_id 0
		.amdhsa_user_sgpr_flat_scratch_init 0
		.amdhsa_user_sgpr_private_segment_size 0
		.amdhsa_wavefront_size32 1
		.amdhsa_uses_dynamic_stack 0
		.amdhsa_system_sgpr_private_segment_wavefront_offset 0
		.amdhsa_system_sgpr_workgroup_id_x 1
		.amdhsa_system_sgpr_workgroup_id_y 0
		.amdhsa_system_sgpr_workgroup_id_z 0
		.amdhsa_system_sgpr_workgroup_info 0
		.amdhsa_system_vgpr_workitem_id 0
		.amdhsa_next_free_vgpr 183
		.amdhsa_next_free_sgpr 27
		.amdhsa_reserve_vcc 1
		.amdhsa_reserve_flat_scratch 0
		.amdhsa_float_round_mode_32 0
		.amdhsa_float_round_mode_16_64 0
		.amdhsa_float_denorm_mode_32 3
		.amdhsa_float_denorm_mode_16_64 3
		.amdhsa_dx10_clamp 1
		.amdhsa_ieee_mode 1
		.amdhsa_fp16_overflow 0
		.amdhsa_workgroup_processor_mode 1
		.amdhsa_memory_ordered 1
		.amdhsa_forward_progress 0
		.amdhsa_shared_vgpr_count 0
		.amdhsa_exception_fp_ieee_invalid_op 0
		.amdhsa_exception_fp_denorm_src 0
		.amdhsa_exception_fp_ieee_div_zero 0
		.amdhsa_exception_fp_ieee_overflow 0
		.amdhsa_exception_fp_ieee_underflow 0
		.amdhsa_exception_fp_ieee_inexact 0
		.amdhsa_exception_int_div_zero 0
	.end_amdhsa_kernel
	.text
.Lfunc_end0:
	.size	fft_rtc_back_len3840_factors_10_6_2_2_2_2_2_2_wgs_128_tpt_128_halfLds_sp_op_CI_CI_unitstride_sbrr_C2R_dirReg, .Lfunc_end0-fft_rtc_back_len3840_factors_10_6_2_2_2_2_2_2_wgs_128_tpt_128_halfLds_sp_op_CI_CI_unitstride_sbrr_C2R_dirReg
                                        ; -- End function
	.section	.AMDGPU.csdata,"",@progbits
; Kernel info:
; codeLenInByte = 22512
; NumSgprs: 29
; NumVgprs: 183
; ScratchSize: 0
; MemoryBound: 0
; FloatMode: 240
; IeeeMode: 1
; LDSByteSize: 0 bytes/workgroup (compile time only)
; SGPRBlocks: 3
; VGPRBlocks: 22
; NumSGPRsForWavesPerEU: 29
; NumVGPRsForWavesPerEU: 183
; Occupancy: 5
; WaveLimiterHint : 1
; COMPUTE_PGM_RSRC2:SCRATCH_EN: 0
; COMPUTE_PGM_RSRC2:USER_SGPR: 6
; COMPUTE_PGM_RSRC2:TRAP_HANDLER: 0
; COMPUTE_PGM_RSRC2:TGID_X_EN: 1
; COMPUTE_PGM_RSRC2:TGID_Y_EN: 0
; COMPUTE_PGM_RSRC2:TGID_Z_EN: 0
; COMPUTE_PGM_RSRC2:TIDIG_COMP_CNT: 0
	.text
	.p2alignl 6, 3214868480
	.fill 48, 4, 3214868480
	.type	__hip_cuid_a9742e3a53bb156b,@object ; @__hip_cuid_a9742e3a53bb156b
	.section	.bss,"aw",@nobits
	.globl	__hip_cuid_a9742e3a53bb156b
__hip_cuid_a9742e3a53bb156b:
	.byte	0                               ; 0x0
	.size	__hip_cuid_a9742e3a53bb156b, 1

	.ident	"AMD clang version 19.0.0git (https://github.com/RadeonOpenCompute/llvm-project roc-6.4.0 25133 c7fe45cf4b819c5991fe208aaa96edf142730f1d)"
	.section	".note.GNU-stack","",@progbits
	.addrsig
	.addrsig_sym __hip_cuid_a9742e3a53bb156b
	.amdgpu_metadata
---
amdhsa.kernels:
  - .args:
      - .actual_access:  read_only
        .address_space:  global
        .offset:         0
        .size:           8
        .value_kind:     global_buffer
      - .offset:         8
        .size:           8
        .value_kind:     by_value
      - .actual_access:  read_only
        .address_space:  global
        .offset:         16
        .size:           8
        .value_kind:     global_buffer
      - .actual_access:  read_only
        .address_space:  global
        .offset:         24
        .size:           8
        .value_kind:     global_buffer
      - .actual_access:  read_only
        .address_space:  global
        .offset:         32
        .size:           8
        .value_kind:     global_buffer
      - .offset:         40
        .size:           8
        .value_kind:     by_value
      - .actual_access:  read_only
        .address_space:  global
        .offset:         48
        .size:           8
        .value_kind:     global_buffer
      - .actual_access:  read_only
        .address_space:  global
        .offset:         56
        .size:           8
        .value_kind:     global_buffer
      - .offset:         64
        .size:           4
        .value_kind:     by_value
      - .actual_access:  read_only
        .address_space:  global
        .offset:         72
        .size:           8
        .value_kind:     global_buffer
      - .actual_access:  read_only
        .address_space:  global
        .offset:         80
        .size:           8
        .value_kind:     global_buffer
      - .actual_access:  read_only
        .address_space:  global
        .offset:         88
        .size:           8
        .value_kind:     global_buffer
      - .actual_access:  write_only
        .address_space:  global
        .offset:         96
        .size:           8
        .value_kind:     global_buffer
    .group_segment_fixed_size: 0
    .kernarg_segment_align: 8
    .kernarg_segment_size: 104
    .language:       OpenCL C
    .language_version:
      - 2
      - 0
    .max_flat_workgroup_size: 128
    .name:           fft_rtc_back_len3840_factors_10_6_2_2_2_2_2_2_wgs_128_tpt_128_halfLds_sp_op_CI_CI_unitstride_sbrr_C2R_dirReg
    .private_segment_fixed_size: 0
    .sgpr_count:     29
    .sgpr_spill_count: 0
    .symbol:         fft_rtc_back_len3840_factors_10_6_2_2_2_2_2_2_wgs_128_tpt_128_halfLds_sp_op_CI_CI_unitstride_sbrr_C2R_dirReg.kd
    .uniform_work_group_size: 1
    .uses_dynamic_stack: false
    .vgpr_count:     183
    .vgpr_spill_count: 0
    .wavefront_size: 32
    .workgroup_processor_mode: 1
amdhsa.target:   amdgcn-amd-amdhsa--gfx1030
amdhsa.version:
  - 1
  - 2
...

	.end_amdgpu_metadata
